;; amdgpu-corpus repo=ROCm/aiter kind=harvested arch=n/a opt=n/a

/root/src/amdgpu-assembly/repos/ROCm__aiter/hsa/gfx950/fmoe_2stages/fmoe_stage1_bf16_pertokenFp8_g1u1_144x64_pf3.co:	file format elf64-amdgpu

Disassembly of section .text:

0000000000002a00 <_ZN5aiter44fmoe_stage1_bf16_pertokenFp8_g1u1_144x64_pf3E>:
	s_and_b32 s1, s1, 0xffff                                   // 000000002A00: 8601FF01 0000FFFF
	s_load_dwordx2 s[8:9], s[0:1], 0x0                         // 000000002A08: C0060200 00000000
	s_load_dwordx2 s[20:21], s[0:1], 0x10                      // 000000002A10: C0060500 00000010
	s_load_dwordx2 s[24:25], s[0:1], 0x20                      // 000000002A18: C0060600 00000020
	s_load_dwordx2 s[48:49], s[0:1], 0x30                      // 000000002A20: C0060C00 00000030
	s_load_dwordx2 s[28:29], s[0:1], 0x40                      // 000000002A28: C0060700 00000040
	s_load_dwordx2 s[32:33], s[0:1], 0x50                      // 000000002A30: C0060800 00000050
	s_load_dwordx2 s[36:37], s[0:1], 0x60                      // 000000002A38: C0060900 00000060
	s_load_dwordx2 s[12:13], s[0:1], 0x70                      // 000000002A40: C0060300 00000070
	s_load_dwordx2 s[44:45], s[0:1], 0x80                      // 000000002A48: C0060B00 00000080
	s_mov_b32 s89, 0                                           // 000000002A50: BED90080
	s_load_dword s64, s[0:1], 0x90                             // 000000002A54: C0021000 00000090
	s_load_dword s65, s[0:1], 0xa0                             // 000000002A5C: C0021040 000000A0
	s_load_dword s66, s[0:1], 0xb0                             // 000000002A64: C0021080 000000B0
	s_load_dword s67, s[0:1], 0xc0                             // 000000002A6C: C00210C0 000000C0
	s_load_dword s68, s[0:1], 0xd0                             // 000000002A74: C0021100 000000D0
	s_load_dword s69, s[0:1], 0xe0                             // 000000002A7C: C0021140 000000E0
	s_load_dword s71, s[0:1], 0xf0                             // 000000002A84: C00211C0 000000F0
	s_load_dword s72, s[0:1], 0x100                            // 000000002A8C: C0021200 00000100
	s_load_dword s74, s[0:1], 0x110                            // 000000002A94: C0021280 00000110
	s_load_dword s76, s[0:1], 0x120                            // 000000002A9C: C0021300 00000120
	s_load_dword s56, s[0:1], 0x130                            // 000000002AA4: C0020E00 00000130
	s_load_dword s88, s[0:1], 0x140                            // 000000002AAC: C0021600 00000140
	s_load_dword s89, s[0:1], 0x150                            // 000000002AB4: C0021640 00000150
	v_lshrrev_b32_e32 v1, 10, v0                               // 000000002ABC: 2002008A
	v_lshrrev_b32_e32 v2, 10, v1                               // 000000002AC0: 2004028A
	v_and_b32_e32 v2, 0x3ff, v2                                // 000000002AC4: 260404FF 000003FF
	v_and_b32_e32 v1, 0x3ff, v1                                // 000000002ACC: 260202FF 000003FF
	v_and_b32_e32 v0, 0x3ff, v0                                // 000000002AD4: 260000FF 000003FF
	v_lshrrev_b32_e32 v3, 6, v0                                // 000000002ADC: 20060086
	v_and_b32_e32 v0, 63, v0                                   // 000000002AE0: 260000BF
	s_mov_b32 s2, s2                                           // 000000002AE4: BE820002
	s_mov_b32 s3, s3                                           // 000000002AE8: BE830003
	s_mov_b32 s4, s4                                           // 000000002AEC: BE840004
	v_readfirstlane_b32 s7, v3                                 // 000000002AF0: 7E0E0503
	s_waitcnt lgkmcnt(0)                                       // 000000002AF4: BF8CC07F
	s_and_b32 s49, s49, 0xffff                                 // 000000002AF8: 8631FF31 0000FFFF
	s_load_dword s48, s[48:49], 0x0                            // 000000002B00: C0020C18 00000000
	s_and_b32 s45, s45, 0xffff                                 // 000000002B08: 862DFF2D 0000FFFF
	s_and_b32 s9, s9, 0xffff                                   // 000000002B10: 8609FF09 0000FFFF
	s_mul_i32 s60, s66, s68                                    // 000000002B18: 923C4442
	s_mul_i32 s61, s66, 4                                      // 000000002B1C: 923D8442
	s_mov_b32 s22, s60                                         // 000000002B20: BE96003C
	s_mov_b32 s26, -16                                         // 000000002B24: BE9A00D0
	s_mov_b32 s30, s61                                         // 000000002B28: BE9E003D
	s_mov_b32 s14, 0x240                                       // 000000002B2C: BE8E00FF 00000240
	s_mov_b32 s38, -16                                         // 000000002B34: BEA600D0
	s_mov_b32 s10, -16                                         // 000000002B38: BE8A00D0
	s_mov_b32 s34, 0x100                                       // 000000002B3C: BEA200FF 00000100
	s_mov_b32 s23, 0x20000                                     // 000000002B44: BE9700FF 00020000
	s_mov_b32 s27, 0x20000                                     // 000000002B4C: BE9B00FF 00020000
	s_mov_b32 s31, 0x20000                                     // 000000002B54: BE9F00FF 00020000
	s_mov_b32 s35, 0x20000                                     // 000000002B5C: BEA300FF 00020000
	s_mov_b32 s15, 0x20000                                     // 000000002B64: BE8F00FF 00020000
	s_mov_b32 s39, 0x20000                                     // 000000002B6C: BEA700FF 00020000
	s_mov_b32 s11, 0x20000                                     // 000000002B74: BE8B00FF 00020000
	s_and_b32 s21, s21, 0xffff                                 // 000000002B7C: 8615FF15 0000FFFF
	s_and_b32 s25, s25, 0xffff                                 // 000000002B84: 8619FF19 0000FFFF
	s_and_b32 s29, s29, 0xffff                                 // 000000002B8C: 861DFF1D 0000FFFF
	s_and_b32 s33, s33, 0xffff                                 // 000000002B94: 8621FF21 0000FFFF
	s_and_b32 s13, s13, 0xffff                                 // 000000002B9C: 860DFF0D 0000FFFF
	s_and_b32 s37, s37, 0xffff                                 // 000000002BA4: 8625FF25 0000FFFF
	s_or_b32 s21, s21, 0x40000                                 // 000000002BAC: 8715FF15 00040000
	s_or_b32 s25, s25, 0x40000                                 // 000000002BB4: 8719FF19 00040000
	s_or_b32 s29, s29, 0x40000                                 // 000000002BBC: 871DFF1D 00040000
	s_or_b32 s33, s33, 0x40000                                 // 000000002BC4: 8721FF21 00040000
	s_or_b32 s13, s13, 0x40000                                 // 000000002BCC: 870DFF0D 00040000
	s_or_b32 s37, s37, 0x40000                                 // 000000002BD4: 8725FF25 00040000
	v_accvgpr_write_b32 a167, 0                                // 000000002BDC: D3D940A7 18000080
	v_mov_b32_e32 v159, 0                                      // 000000002BE4: 7F3E0280
	s_waitcnt lgkmcnt(0)                                       // 000000002BE8: BF8CC07F
	s_mul_i32 s60, s3, 0x90                                    // 000000002BEC: 923CFF03 00000090
	s_cmp_lt_i32 s60, s48                                      // 000000002BF4: BF04303C
	s_cbranch_scc0 label_2F47                                  // 000000002BF8: BF842EC5
	s_mov_b32 s80, 0                                           // 000000002BFC: BED00080
	s_lshr_b32 s81, s64, s88                                   // 000000002C00: 8F515840
	s_mul_i32 s60, s3, 4                                       // 000000002C04: 923C8403
	s_add_u32 s44, s60, s44                                    // 000000002C08: 802C2C3C
	s_addc_u32 s45, 0, s45                                     // 000000002C0C: 822D2D80
	s_load_dword s5, s[44:45], 0x0                             // 000000002C10: C0020156 00000000
	s_mul_i32 s60, s3, 0x90                                    // 000000002C18: 923CFF03 00000090
	s_mul_i32 s60, 4, s60                                      // 000000002C20: 923C3C84
	s_add_u32 s12, s60, s12                                    // 000000002C24: 800C0C3C
	s_addc_u32 s13, 0, s13                                     // 000000002C28: 820D0D80
	v_and_b32_e32 v4, 15, v0                                   // 000000002C2C: 2608008F
	v_lshlrev_b32_e32 v4, 2, v4                                // 000000002C30: 24080882
	buffer_load_dword v30, v4, s[12:15], 0 offen               // 000000002C34: E0501000 80031E04
	v_add_u32_e32 v4, 64, v4                                   // 000000002C3C: 680808C0
	buffer_load_dword v31, v4, s[12:15], 0 offen               // 000000002C40: E0501000 80031F04
	v_add_u32_e32 v4, 64, v4                                   // 000000002C48: 680808C0
	buffer_load_dword v32, v4, s[12:15], 0 offen               // 000000002C4C: E0501000 80032004
	v_add_u32_e32 v4, 64, v4                                   // 000000002C54: 680808C0
	buffer_load_dword v33, v4, s[12:15], 0 offen               // 000000002C58: E0501000 80032104
	v_add_u32_e32 v4, 64, v4                                   // 000000002C60: 680808C0
	buffer_load_dword v34, v4, s[12:15], 0 offen               // 000000002C64: E0501000 80032204
	v_add_u32_e32 v4, 64, v4                                   // 000000002C6C: 680808C0
	buffer_load_dword v35, v4, s[12:15], 0 offen               // 000000002C70: E0501000 80032304
	v_add_u32_e32 v4, 64, v4                                   // 000000002C78: 680808C0
	buffer_load_dword v36, v4, s[12:15], 0 offen               // 000000002C7C: E0501000 80032404
	v_add_u32_e32 v4, 64, v4                                   // 000000002C84: 680808C0
	buffer_load_dword v37, v4, s[12:15], 0 offen               // 000000002C88: E0501000 80032504
	v_add_u32_e32 v4, 64, v4                                   // 000000002C90: 680808C0
	buffer_load_dword v38, v4, s[12:15], 0 offen               // 000000002C94: E0501000 80032604
	v_add_u32_e32 v4, 64, v4                                   // 000000002C9C: 680808C0
	s_mul_i32 s60, 4, s7                                       // 000000002CA0: 923C0784
	v_lshlrev_b32_e32 v4, 4, v0                                // 000000002CA4: 24080084
	v_add_u32_e32 v4, s60, v4                                  // 000000002CA8: 6808083C
	buffer_load_dword v3, v4, s[12:15], 0 offen                // 000000002CAC: E0501000 80030304
	v_mov_b32_e32 v88, 0                                       // 000000002CB4: 7EB00280
	v_mov_b32_e32 v124, 0                                      // 000000002CB8: 7EF80280
	v_mov_b32_e32 v89, 0                                       // 000000002CBC: 7EB20280
	v_mov_b32_e32 v125, 0                                      // 000000002CC0: 7EFA0280
	v_mov_b32_e32 v90, 0                                       // 000000002CC4: 7EB40280
	v_mov_b32_e32 v126, 0                                      // 000000002CC8: 7EFC0280
	v_mov_b32_e32 v91, 0                                       // 000000002CCC: 7EB60280
	v_mov_b32_e32 v127, 0                                      // 000000002CD0: 7EFE0280
	v_mov_b32_e32 v92, 0                                       // 000000002CD4: 7EB80280
	v_mov_b32_e32 v128, 0                                      // 000000002CD8: 7F000280
	v_mov_b32_e32 v93, 0                                       // 000000002CDC: 7EBA0280
	v_mov_b32_e32 v129, 0                                      // 000000002CE0: 7F020280
	v_mov_b32_e32 v94, 0                                       // 000000002CE4: 7EBC0280
	v_mov_b32_e32 v130, 0                                      // 000000002CE8: 7F040280
	v_mov_b32_e32 v95, 0                                       // 000000002CEC: 7EBE0280
	v_mov_b32_e32 v131, 0                                      // 000000002CF0: 7F060280
	v_mov_b32_e32 v96, 0                                       // 000000002CF4: 7EC00280
	v_mov_b32_e32 v132, 0                                      // 000000002CF8: 7F080280
	v_mov_b32_e32 v97, 0                                       // 000000002CFC: 7EC20280
	v_mov_b32_e32 v133, 0                                      // 000000002D00: 7F0A0280
	v_mov_b32_e32 v98, 0                                       // 000000002D04: 7EC40280
	v_mov_b32_e32 v134, 0                                      // 000000002D08: 7F0C0280
	v_mov_b32_e32 v99, 0                                       // 000000002D0C: 7EC60280
	v_mov_b32_e32 v135, 0                                      // 000000002D10: 7F0E0280
	v_mov_b32_e32 v100, 0                                      // 000000002D14: 7EC80280
	v_mov_b32_e32 v136, 0                                      // 000000002D18: 7F100280
	v_mov_b32_e32 v101, 0                                      // 000000002D1C: 7ECA0280
	v_mov_b32_e32 v137, 0                                      // 000000002D20: 7F120280
	v_mov_b32_e32 v102, 0                                      // 000000002D24: 7ECC0280
	v_mov_b32_e32 v138, 0                                      // 000000002D28: 7F140280
	v_mov_b32_e32 v103, 0                                      // 000000002D2C: 7ECE0280
	v_mov_b32_e32 v139, 0                                      // 000000002D30: 7F160280
	v_mov_b32_e32 v104, 0                                      // 000000002D34: 7ED00280
	v_mov_b32_e32 v140, 0                                      // 000000002D38: 7F180280
	v_mov_b32_e32 v105, 0                                      // 000000002D3C: 7ED20280
	v_mov_b32_e32 v141, 0                                      // 000000002D40: 7F1A0280
	v_mov_b32_e32 v106, 0                                      // 000000002D44: 7ED40280
	v_mov_b32_e32 v142, 0                                      // 000000002D48: 7F1C0280
	v_mov_b32_e32 v107, 0                                      // 000000002D4C: 7ED60280
	v_mov_b32_e32 v143, 0                                      // 000000002D50: 7F1E0280
	v_mov_b32_e32 v108, 0                                      // 000000002D54: 7ED80280
	v_mov_b32_e32 v144, 0                                      // 000000002D58: 7F200280
	v_mov_b32_e32 v109, 0                                      // 000000002D5C: 7EDA0280
	v_mov_b32_e32 v145, 0                                      // 000000002D60: 7F220280
	v_mov_b32_e32 v110, 0                                      // 000000002D64: 7EDC0280
	v_mov_b32_e32 v146, 0                                      // 000000002D68: 7F240280
	v_mov_b32_e32 v111, 0                                      // 000000002D6C: 7EDE0280
	v_mov_b32_e32 v147, 0                                      // 000000002D70: 7F260280
	v_mov_b32_e32 v112, 0                                      // 000000002D74: 7EE00280
	v_mov_b32_e32 v148, 0                                      // 000000002D78: 7F280280
	v_mov_b32_e32 v113, 0                                      // 000000002D7C: 7EE20280
	v_mov_b32_e32 v149, 0                                      // 000000002D80: 7F2A0280
	v_mov_b32_e32 v114, 0                                      // 000000002D84: 7EE40280
	v_mov_b32_e32 v150, 0                                      // 000000002D88: 7F2C0280
	v_mov_b32_e32 v115, 0                                      // 000000002D8C: 7EE60280
	v_mov_b32_e32 v151, 0                                      // 000000002D90: 7F2E0280
	v_mov_b32_e32 v116, 0                                      // 000000002D94: 7EE80280
	v_mov_b32_e32 v152, 0                                      // 000000002D98: 7F300280
	v_mov_b32_e32 v117, 0                                      // 000000002D9C: 7EEA0280
	v_mov_b32_e32 v153, 0                                      // 000000002DA0: 7F320280
	v_mov_b32_e32 v118, 0                                      // 000000002DA4: 7EEC0280
	v_mov_b32_e32 v154, 0                                      // 000000002DA8: 7F340280
	v_mov_b32_e32 v119, 0                                      // 000000002DAC: 7EEE0280
	v_mov_b32_e32 v155, 0                                      // 000000002DB0: 7F360280
	v_mov_b32_e32 v120, 0                                      // 000000002DB4: 7EF00280
	v_mov_b32_e32 v156, 0                                      // 000000002DB8: 7F380280
	v_mov_b32_e32 v121, 0                                      // 000000002DBC: 7EF20280
	v_mov_b32_e32 v157, 0                                      // 000000002DC0: 7F3A0280
	v_mov_b32_e32 v122, 0                                      // 000000002DC4: 7EF40280
	v_mov_b32_e32 v158, 0                                      // 000000002DC8: 7F3C0280
	v_mov_b32_e32 v123, 0                                      // 000000002DCC: 7EF60280
	v_mov_b32_e32 v159, 0                                      // 000000002DD0: 7F3E0280
	s_mul_i32 s60, s2, 0x80                                    // 000000002DD4: 923CFF02 00000080
	s_cmp_eq_u32 s88, 0                                        // 000000002DDC: BF068058
	s_cselect_b32 s61, 1, 2                                    // 000000002DE0: 853D8281
	s_mul_i32 s60, s60, s61                                    // 000000002DE4: 923C3D3C
	s_mov_b32 s90, s8                                          // 000000002DE8: BEDA0008
	s_mov_b32 s91, s9                                          // 000000002DEC: BEDB0009
	s_add_u32 s8, s60, s8                                      // 000000002DF0: 8008083C
	s_addc_u32 s9, 0, s9                                       // 000000002DF4: 82090980
	v_lshrrev_b32_e32 v4, 4, v0                                // 000000002DF8: 20080084
	v_mul_lo_u32 v20, 34, v4                                   // 000000002DFC: D2850014 000208A2
	v_and_b32_e32 v4, 15, v0                                   // 000000002E04: 2608008F
	v_mul_lo_u32 v5, 2, v4                                     // 000000002E08: D2850005 00020882
	v_add_u32_e32 v20, v5, v20                                 // 000000002E10: 68282905
	s_mul_i32 s60, s7, 0x88                                    // 000000002E14: 923CFF07 00000088
	v_add_u32_e32 v20, s60, v20                                // 000000002E1C: 6828283C
	v_lshlrev_b32_e32 v20, 2, v20                              // 000000002E20: 24282882
	v_and_b32_e32 v4, 31, v0                                   // 000000002E24: 2608009F
	v_lshrrev_b32_e32 v4, 1, v4                                // 000000002E28: 20080881
	v_mul_lo_u32 v21, 34, v4                                   // 000000002E2C: D2850015 000208A2
	v_lshrrev_b32_e32 v4, 5, v0                                // 000000002E34: 20080085
	v_mul_lo_u32 v4, 8, v4                                     // 000000002E38: D2850004 00020888
	v_add_u32_e32 v21, v21, v4                                 // 000000002E40: 682A0915
	v_and_b32_e32 v5, 1, v0                                    // 000000002E44: 260A0081
	v_add_u32_e32 v21, v5, v21                                 // 000000002E48: 682A2B05
	s_mul_i32 s60, s7, 2                                       // 000000002E4C: 923C8207
	v_add_u32_e32 v21, s60, v21                                // 000000002E50: 682A2A3C
	v_lshlrev_b32_e32 v21, 2, v21                              // 000000002E54: 242A2A82
	s_mul_i32 s60, s7, 0x1220                                  // 000000002E58: 923CFF07 00001220
	s_add_u32 s48, 0, s60                                      // 000000002E60: 80303C80
	s_add_u32 s49, 0x4880, s48                                 // 000000002E64: 803130FF 00004880
	s_add_u32 s50, 0x4880, s49                                 // 000000002E6C: 803231FF 00004880
	v_lshrrev_b32_e32 v4, 4, v0                                // 000000002E74: 20080084
	v_lshlrev_b32_e32 v5, 2, v4                                // 000000002E78: 240A0882
	v_and_b32_e32 v4, 15, v0                                   // 000000002E7C: 2608008F
	v_lshrrev_b32_e32 v6, 2, v4                                // 000000002E80: 200C0882
	v_lshlrev_b32_e32 v6, 5, v6                                // 000000002E84: 240C0C85
	v_add_u32_e32 v5, v6, v5                                   // 000000002E88: 680A0B06
	v_and_b32_e32 v4, 3, v0                                    // 000000002E8C: 26080083
	v_mul_u32_u24_e32 v6, 0x488, v4                            // 000000002E90: 100C08FF 00000488
	v_add_u32_e32 v5, v6, v5                                   // 000000002E98: 680A0B06
	v_lshlrev_b32_e32 v2, 2, v5                                // 000000002E9C: 24040A82
	s_waitcnt lgkmcnt(0)                                       // 000000002EA0: BF8CC07F
	s_mul_i32 s60, s2, 64                                      // 000000002EA4: 923CC002
	s_mul_i32 s60, s60, s69                                    // 000000002EA8: 923C453C
	s_mul_i32 s61, s5, s72                                     // 000000002EAC: 923D4805
	s_add_u32 s60, s61, s60                                    // 000000002EB0: 803C3C3D
	s_add_u32 s24, s60, s24                                    // 000000002EB4: 8018183C
	s_addc_u32 s25, 0, s25                                     // 000000002EB8: 82191980
	s_lshr_b32 s60, s64, s88                                   // 000000002EBC: 8F3C5840
	s_mul_i32 s60, s4, s60                                     // 000000002EC0: 923C3C04
	s_lshr_b32 s60, s60, 7                                     // 000000002EC4: 8F3C873C
	s_mul_i32 s60, s60, 0x800                                  // 000000002EC8: 923CFF3C 00000800
	s_add_u32 s24, s60, s24                                    // 000000002ED0: 8018183C
	s_addc_u32 s25, 0, s25                                     // 000000002ED4: 82191980
	s_lshr_b32 s60, s69, s88                                   // 000000002ED8: 8F3C5845
	s_mul_i32 s60, s4, s60                                     // 000000002EDC: 923C3C04
	s_add_u32 s20, s60, s20                                    // 000000002EE0: 8014143C
	s_addc_u32 s21, 0, s21                                     // 000000002EE4: 82151580
	s_mul_i32 s60, s7, 16                                      // 000000002EE8: 923C9007
	s_mul_i32 s60, s60, s69                                    // 000000002EEC: 923C453C
	v_lshlrev_b32_e32 v84, 4, v0                               // 000000002EF0: 24A80084
	v_add_u32_e32 v84, s60, v84                                // 000000002EF4: 68A8A83C
	s_mul_i32 s60, 64, s69                                     // 000000002EF8: 923C45C0
	s_mov_b32 s84, s24                                         // 000000002EFC: BED40018
	s_mov_b32 s85, s25                                         // 000000002F00: BED50019
	s_mov_b32 s86, s26                                         // 000000002F04: BED6001A
	s_mov_b32 s87, s27                                         // 000000002F08: BED7001B
	s_mul_i32 s60, s69, s65                                    // 000000002F0C: 923C4145
	s_add_u32 s84, s60, s84                                    // 000000002F10: 8054543C
	s_addc_u32 s85, 0, s85                                     // 000000002F14: 82555580
	v_lshrrev_b32_e32 v4, 4, v0                                // 000000002F18: 20080084
	v_lshlrev_b32_e32 v5, 2, v4                                // 000000002F1C: 240A0882
	v_and_b32_e32 v4, 15, v0                                   // 000000002F20: 2608008F
	v_lshrrev_b32_e32 v6, 2, v4                                // 000000002F24: 200C0882
	v_lshlrev_b32_e32 v6, 6, v6                                // 000000002F28: 240C0C86
	v_add_u32_e32 v5, v6, v5                                   // 000000002F2C: 680A0B06
	v_and_b32_e32 v4, 3, v0                                    // 000000002F30: 26080083
	v_add_u32_e32 v5, v4, v5                                   // 000000002F34: 680A0B04
	v_lshlrev_b32_e32 v22, 2, v5                               // 000000002F38: 242C0A82
	s_mul_i32 s60, s7, 16                                      // 000000002F3C: 923C9007
	s_mul_i32 s60, s60, 4                                      // 000000002F40: 923C843C
	v_add_u32_e32 v22, s60, v22                                // 000000002F44: 682C2C3C
	s_mul_i32 s60, s2, 64                                      // 000000002F48: 923CC002
	s_mul_i32 s60, s60, 4                                      // 000000002F4C: 923C843C
	s_mul_i32 s61, s5, s74                                     // 000000002F50: 923D4A05
	s_add_u32 s61, s61, s60                                    // 000000002F54: 803D3C3D
	s_add_u32 s32, s61, s32                                    // 000000002F58: 8020203D
	s_addc_u32 s33, 0, s33                                     // 000000002F5C: 82212180
	s_mov_b32 s57, 0x80                                        // 000000002F60: BEB900FF 00000080
	s_mov_b32 s58, 0x800                                       // 000000002F68: BEBA00FF 00000800
	s_mov_b32 s83, s58                                         // 000000002F70: BED3003A
	s_mov_b32 s52, 0x7060302                                   // 000000002F74: BEB400FF 07060302
	s_mov_b32 s53, 0x400                                       // 000000002F7C: BEB500FF 00000400
	s_mov_b32 s54, 0x40100                                     // 000000002F84: BEB600FF 00040100
	s_mov_b32 s55, 0x4020100                                   // 000000002F8C: BEB700FF 04020100
	s_mov_b32 s6, 0x3fb8aa3b                                   // 000000002F94: BE8600FF 3FB8AA3B
	s_mov_b32 s78, 0xbd92220c                                  // 000000002F9C: BECE00FF BD92220C
	s_mov_b32 s79, 0xbd92220c                                  // 000000002FA4: BECF00FF BD92220C
	s_mov_b32 m0, s48                                          // 000000002FAC: BEFC0030
	v_mov_b32_e32 v1, 0xbfcc4231                               // 000000002FB0: 7E0202FF BFCC4231
	v_mov_b32_e32 v17, 0xffff0000                              // 000000002FB8: 7E2202FF FFFF0000
	v_mov_b32_e32 v18, 0x7fff0000                              // 000000002FC0: 7E2402FF 7FFF0000
	v_mov_b32_e32 v19, 0x7fff                                  // 000000002FC8: 7E2602FF 00007FFF
	s_waitcnt vmcnt(0) expcnt(0) lgkmcnt(0)                    // 000000002FD0: BF8C0000
	v_lshrrev_b32_e32 v4, 5, v0                                // 000000002FD4: 20080085
	v_xor_b32_e32 v5, 1, v4                                    // 000000002FD8: 2A0A0881
	v_readlane_b32 s82, v3, 0                                  // 000000002FDC: D2890052 00010103
	s_and_b32 s82, s82, 0xffffff                               // 000000002FE4: 8652FF52 00FFFFFF
	v_mul_lo_u32 v6, v5, s82                                   // 000000002FEC: D2850006 0000A505
	v_readlane_b32 s82, v3, 1                                  // 000000002FF4: D2890052 00010303
	s_and_b32 s82, s82, 0xffffff                               // 000000002FFC: 8652FF52 00FFFFFF
	v_mul_lo_u32 v7, v4, s82                                   // 000000003004: D2850007 0000A504
	v_add_u32_e32 v66, v6, v7                                  // 00000000300C: 68840F06
	v_mul_lo_u32 v66, v66, s68                                 // 000000003010: D2850042 00008942
	v_readlane_b32 s82, v3, 2                                  // 000000003018: D2890052 00010503
	s_and_b32 s82, s82, 0xffffff                               // 000000003020: 8652FF52 00FFFFFF
	v_mul_lo_u32 v6, v5, s82                                   // 000000003028: D2850006 0000A505
	v_readlane_b32 s82, v3, 3                                  // 000000003030: D2890052 00010703
	s_and_b32 s82, s82, 0xffffff                               // 000000003038: 8652FF52 00FFFFFF
	v_mul_lo_u32 v7, v4, s82                                   // 000000003040: D2850007 0000A504
	v_add_u32_e32 v67, v6, v7                                  // 000000003048: 68860F06
	v_mul_lo_u32 v67, v67, s68                                 // 00000000304C: D2850043 00008943
	v_readlane_b32 s82, v3, 4                                  // 000000003054: D2890052 00010903
	s_and_b32 s82, s82, 0xffffff                               // 00000000305C: 8652FF52 00FFFFFF
	v_mul_lo_u32 v6, v5, s82                                   // 000000003064: D2850006 0000A505
	v_readlane_b32 s82, v3, 5                                  // 00000000306C: D2890052 00010B03
	s_and_b32 s82, s82, 0xffffff                               // 000000003074: 8652FF52 00FFFFFF
	v_mul_lo_u32 v7, v4, s82                                   // 00000000307C: D2850007 0000A504
	v_add_u32_e32 v68, v6, v7                                  // 000000003084: 68880F06
	v_mul_lo_u32 v68, v68, s68                                 // 000000003088: D2850044 00008944
	v_readlane_b32 s82, v3, 6                                  // 000000003090: D2890052 00010D03
	s_and_b32 s82, s82, 0xffffff                               // 000000003098: 8652FF52 00FFFFFF
	v_mul_lo_u32 v6, v5, s82                                   // 0000000030A0: D2850006 0000A505
	v_readlane_b32 s82, v3, 7                                  // 0000000030A8: D2890052 00010F03
	s_and_b32 s82, s82, 0xffffff                               // 0000000030B0: 8652FF52 00FFFFFF
	v_mul_lo_u32 v7, v4, s82                                   // 0000000030B8: D2850007 0000A504
	v_add_u32_e32 v69, v6, v7                                  // 0000000030C0: 688A0F06
	v_mul_lo_u32 v69, v69, s68                                 // 0000000030C4: D2850045 00008945
	v_readlane_b32 s82, v3, 8                                  // 0000000030CC: D2890052 00011103
	s_and_b32 s82, s82, 0xffffff                               // 0000000030D4: 8652FF52 00FFFFFF
	v_mul_lo_u32 v6, v5, s82                                   // 0000000030DC: D2850006 0000A505
	v_readlane_b32 s82, v3, 9                                  // 0000000030E4: D2890052 00011303
	s_and_b32 s82, s82, 0xffffff                               // 0000000030EC: 8652FF52 00FFFFFF
	v_mul_lo_u32 v7, v4, s82                                   // 0000000030F4: D2850007 0000A504
	v_add_u32_e32 v70, v6, v7                                  // 0000000030FC: 688C0F06
	v_mul_lo_u32 v70, v70, s68                                 // 000000003100: D2850046 00008946
	v_readlane_b32 s82, v3, 10                                 // 000000003108: D2890052 00011503
	s_and_b32 s82, s82, 0xffffff                               // 000000003110: 8652FF52 00FFFFFF
	v_mul_lo_u32 v6, v5, s82                                   // 000000003118: D2850006 0000A505
	v_readlane_b32 s82, v3, 11                                 // 000000003120: D2890052 00011703
	s_and_b32 s82, s82, 0xffffff                               // 000000003128: 8652FF52 00FFFFFF
	v_mul_lo_u32 v7, v4, s82                                   // 000000003130: D2850007 0000A504
	v_add_u32_e32 v71, v6, v7                                  // 000000003138: 688E0F06
	v_mul_lo_u32 v71, v71, s68                                 // 00000000313C: D2850047 00008947
	v_readlane_b32 s82, v3, 12                                 // 000000003144: D2890052 00011903
	s_and_b32 s82, s82, 0xffffff                               // 00000000314C: 8652FF52 00FFFFFF
	v_mul_lo_u32 v6, v5, s82                                   // 000000003154: D2850006 0000A505
	v_readlane_b32 s82, v3, 13                                 // 00000000315C: D2890052 00011B03
	s_and_b32 s82, s82, 0xffffff                               // 000000003164: 8652FF52 00FFFFFF
	v_mul_lo_u32 v7, v4, s82                                   // 00000000316C: D2850007 0000A504
	v_add_u32_e32 v72, v6, v7                                  // 000000003174: 68900F06
	v_mul_lo_u32 v72, v72, s68                                 // 000000003178: D2850048 00008948
	v_readlane_b32 s82, v3, 14                                 // 000000003180: D2890052 00011D03
	s_and_b32 s82, s82, 0xffffff                               // 000000003188: 8652FF52 00FFFFFF
	v_mul_lo_u32 v6, v5, s82                                   // 000000003190: D2850006 0000A505
	v_readlane_b32 s82, v3, 15                                 // 000000003198: D2890052 00011F03
	s_and_b32 s82, s82, 0xffffff                               // 0000000031A0: 8652FF52 00FFFFFF
	v_mul_lo_u32 v7, v4, s82                                   // 0000000031A8: D2850007 0000A504
	v_add_u32_e32 v73, v6, v7                                  // 0000000031B0: 68920F06
	v_mul_lo_u32 v73, v73, s68                                 // 0000000031B4: D2850049 00008949
	v_readlane_b32 s82, v3, 16                                 // 0000000031BC: D2890052 00012103
	s_and_b32 s82, s82, 0xffffff                               // 0000000031C4: 8652FF52 00FFFFFF
	v_mul_lo_u32 v6, v5, s82                                   // 0000000031CC: D2850006 0000A505
	v_readlane_b32 s82, v3, 17                                 // 0000000031D4: D2890052 00012303
	s_and_b32 s82, s82, 0xffffff                               // 0000000031DC: 8652FF52 00FFFFFF
	v_mul_lo_u32 v7, v4, s82                                   // 0000000031E4: D2850007 0000A504
	v_add_u32_e32 v74, v6, v7                                  // 0000000031EC: 68940F06
	v_mul_lo_u32 v74, v74, s68                                 // 0000000031F0: D285004A 0000894A
	v_readlane_b32 s82, v3, 18                                 // 0000000031F8: D2890052 00012503
	s_and_b32 s82, s82, 0xffffff                               // 000000003200: 8652FF52 00FFFFFF
	v_mul_lo_u32 v6, v5, s82                                   // 000000003208: D2850006 0000A505
	v_readlane_b32 s82, v3, 19                                 // 000000003210: D2890052 00012703
	s_and_b32 s82, s82, 0xffffff                               // 000000003218: 8652FF52 00FFFFFF
	v_mul_lo_u32 v7, v4, s82                                   // 000000003220: D2850007 0000A504
	v_add_u32_e32 v75, v6, v7                                  // 000000003228: 68960F06
	v_mul_lo_u32 v75, v75, s68                                 // 00000000322C: D285004B 0000894B
	v_readlane_b32 s82, v3, 20                                 // 000000003234: D2890052 00012903
	s_and_b32 s82, s82, 0xffffff                               // 00000000323C: 8652FF52 00FFFFFF
	v_mul_lo_u32 v6, v5, s82                                   // 000000003244: D2850006 0000A505
	v_readlane_b32 s82, v3, 21                                 // 00000000324C: D2890052 00012B03
	s_and_b32 s82, s82, 0xffffff                               // 000000003254: 8652FF52 00FFFFFF
	v_mul_lo_u32 v7, v4, s82                                   // 00000000325C: D2850007 0000A504
	v_add_u32_e32 v76, v6, v7                                  // 000000003264: 68980F06
	v_mul_lo_u32 v76, v76, s68                                 // 000000003268: D285004C 0000894C
	v_readlane_b32 s82, v3, 22                                 // 000000003270: D2890052 00012D03
	s_and_b32 s82, s82, 0xffffff                               // 000000003278: 8652FF52 00FFFFFF
	v_mul_lo_u32 v6, v5, s82                                   // 000000003280: D2850006 0000A505
	v_readlane_b32 s82, v3, 23                                 // 000000003288: D2890052 00012F03
	s_and_b32 s82, s82, 0xffffff                               // 000000003290: 8652FF52 00FFFFFF
	v_mul_lo_u32 v7, v4, s82                                   // 000000003298: D2850007 0000A504
	v_add_u32_e32 v77, v6, v7                                  // 0000000032A0: 689A0F06
	v_mul_lo_u32 v77, v77, s68                                 // 0000000032A4: D285004D 0000894D
	v_readlane_b32 s82, v3, 24                                 // 0000000032AC: D2890052 00013103
	s_and_b32 s82, s82, 0xffffff                               // 0000000032B4: 8652FF52 00FFFFFF
	v_mul_lo_u32 v6, v5, s82                                   // 0000000032BC: D2850006 0000A505
	v_readlane_b32 s82, v3, 25                                 // 0000000032C4: D2890052 00013303
	s_and_b32 s82, s82, 0xffffff                               // 0000000032CC: 8652FF52 00FFFFFF
	v_mul_lo_u32 v7, v4, s82                                   // 0000000032D4: D2850007 0000A504
	v_add_u32_e32 v78, v6, v7                                  // 0000000032DC: 689C0F06
	v_mul_lo_u32 v78, v78, s68                                 // 0000000032E0: D285004E 0000894E
	v_readlane_b32 s82, v3, 26                                 // 0000000032E8: D2890052 00013503
	s_and_b32 s82, s82, 0xffffff                               // 0000000032F0: 8652FF52 00FFFFFF
	v_mul_lo_u32 v6, v5, s82                                   // 0000000032F8: D2850006 0000A505
	v_readlane_b32 s82, v3, 27                                 // 000000003300: D2890052 00013703
	s_and_b32 s82, s82, 0xffffff                               // 000000003308: 8652FF52 00FFFFFF
	v_mul_lo_u32 v7, v4, s82                                   // 000000003310: D2850007 0000A504
	v_add_u32_e32 v79, v6, v7                                  // 000000003318: 689E0F06
	v_mul_lo_u32 v79, v79, s68                                 // 00000000331C: D285004F 0000894F
	v_readlane_b32 s82, v3, 28                                 // 000000003324: D2890052 00013903
	s_and_b32 s82, s82, 0xffffff                               // 00000000332C: 8652FF52 00FFFFFF
	v_mul_lo_u32 v6, v5, s82                                   // 000000003334: D2850006 0000A505
	v_readlane_b32 s82, v3, 29                                 // 00000000333C: D2890052 00013B03
	s_and_b32 s82, s82, 0xffffff                               // 000000003344: 8652FF52 00FFFFFF
	v_mul_lo_u32 v7, v4, s82                                   // 00000000334C: D2850007 0000A504
	v_add_u32_e32 v80, v6, v7                                  // 000000003354: 68A00F06
	v_mul_lo_u32 v80, v80, s68                                 // 000000003358: D2850050 00008950
	v_readlane_b32 s82, v3, 30                                 // 000000003360: D2890052 00013D03
	s_and_b32 s82, s82, 0xffffff                               // 000000003368: 8652FF52 00FFFFFF
	v_mul_lo_u32 v6, v5, s82                                   // 000000003370: D2850006 0000A505
	v_readlane_b32 s82, v3, 31                                 // 000000003378: D2890052 00013F03
	s_and_b32 s82, s82, 0xffffff                               // 000000003380: 8652FF52 00FFFFFF
	v_mul_lo_u32 v7, v4, s82                                   // 000000003388: D2850007 0000A504
	v_add_u32_e32 v81, v6, v7                                  // 000000003390: 68A20F06
	v_mul_lo_u32 v81, v81, s68                                 // 000000003394: D2850051 00008951
	v_readlane_b32 s82, v3, 32                                 // 00000000339C: D2890052 00014103
	s_and_b32 s82, s82, 0xffffff                               // 0000000033A4: 8652FF52 00FFFFFF
	v_mul_lo_u32 v6, v5, s82                                   // 0000000033AC: D2850006 0000A505
	v_readlane_b32 s82, v3, 33                                 // 0000000033B4: D2890052 00014303
	s_and_b32 s82, s82, 0xffffff                               // 0000000033BC: 8652FF52 00FFFFFF
	v_mul_lo_u32 v7, v4, s82                                   // 0000000033C4: D2850007 0000A504
	v_add_u32_e32 v82, v6, v7                                  // 0000000033CC: 68A40F06
	v_mul_lo_u32 v82, v82, s68                                 // 0000000033D0: D2850052 00008952
	v_readlane_b32 s82, v3, 34                                 // 0000000033D8: D2890052 00014503
	s_and_b32 s82, s82, 0xffffff                               // 0000000033E0: 8652FF52 00FFFFFF
	v_mul_lo_u32 v6, v5, s82                                   // 0000000033E8: D2850006 0000A505
	v_readlane_b32 s82, v3, 35                                 // 0000000033F0: D2890052 00014703
	s_and_b32 s82, s82, 0xffffff                               // 0000000033F8: 8652FF52 00FFFFFF
	v_mul_lo_u32 v7, v4, s82                                   // 000000003400: D2850007 0000A504
	v_add_u32_e32 v83, v6, v7                                  // 000000003408: 68A60F06
	v_mul_lo_u32 v83, v83, s68                                 // 00000000340C: D2850053 00008953
	v_and_b32_e32 v4, 31, v0                                   // 000000003414: 2608009F
	v_lshlrev_b32_e32 v4, 2, v4                                // 000000003418: 24080882
	v_add_u32_e32 v66, v66, v4                                 // 00000000341C: 68840942
	v_add_u32_e32 v67, v67, v4                                 // 000000003420: 68860943
	v_add_u32_e32 v68, v68, v4                                 // 000000003424: 68880944
	v_add_u32_e32 v69, v69, v4                                 // 000000003428: 688A0945
	v_add_u32_e32 v70, v70, v4                                 // 00000000342C: 688C0946
	v_add_u32_e32 v71, v71, v4                                 // 000000003430: 688E0947
	v_add_u32_e32 v72, v72, v4                                 // 000000003434: 68900948
	v_add_u32_e32 v73, v73, v4                                 // 000000003438: 68920949
	v_add_u32_e32 v74, v74, v4                                 // 00000000343C: 6894094A
	v_add_u32_e32 v75, v75, v4                                 // 000000003440: 6896094B
	v_add_u32_e32 v76, v76, v4                                 // 000000003444: 6898094C
	v_add_u32_e32 v77, v77, v4                                 // 000000003448: 689A094D
	v_add_u32_e32 v78, v78, v4                                 // 00000000344C: 689C094E
	v_add_u32_e32 v79, v79, v4                                 // 000000003450: 689E094F
	v_add_u32_e32 v80, v80, v4                                 // 000000003454: 68A00950
	v_add_u32_e32 v81, v81, v4                                 // 000000003458: 68A20951
	v_add_u32_e32 v82, v82, v4                                 // 00000000345C: 68A40952
	v_add_u32_e32 v83, v83, v4                                 // 000000003460: 68A60953
	v_and_b32_e32 v30, 0xffffff, v30                           // 000000003464: 263C3CFF 00FFFFFF
	v_lshlrev_b32_e32 v30, 2, v30                              // 00000000346C: 243C3C82
	v_and_b32_e32 v31, 0xffffff, v31                           // 000000003470: 263E3EFF 00FFFFFF
	v_lshlrev_b32_e32 v31, 2, v31                              // 000000003478: 243E3E82
	v_and_b32_e32 v32, 0xffffff, v32                           // 00000000347C: 264040FF 00FFFFFF
	v_lshlrev_b32_e32 v32, 2, v32                              // 000000003484: 24404082
	v_and_b32_e32 v33, 0xffffff, v33                           // 000000003488: 264242FF 00FFFFFF
	v_lshlrev_b32_e32 v33, 2, v33                              // 000000003490: 24424282
	v_and_b32_e32 v34, 0xffffff, v34                           // 000000003494: 264444FF 00FFFFFF
	v_lshlrev_b32_e32 v34, 2, v34                              // 00000000349C: 24444482
	v_and_b32_e32 v35, 0xffffff, v35                           // 0000000034A0: 264646FF 00FFFFFF
	v_lshlrev_b32_e32 v35, 2, v35                              // 0000000034A8: 24464682
	v_and_b32_e32 v36, 0xffffff, v36                           // 0000000034AC: 264848FF 00FFFFFF
	v_lshlrev_b32_e32 v36, 2, v36                              // 0000000034B4: 24484882
	v_and_b32_e32 v37, 0xffffff, v37                           // 0000000034B8: 264A4AFF 00FFFFFF
	v_lshlrev_b32_e32 v37, 2, v37                              // 0000000034C0: 244A4A82
	v_and_b32_e32 v38, 0xffffff, v38                           // 0000000034C4: 264C4CFF 00FFFFFF
	v_lshlrev_b32_e32 v38, 2, v38                              // 0000000034CC: 244C4C82
	s_lshl_b32 s3, s66, 2                                      // 0000000034D0: 8E038242
	buffer_load_dword v39, v30, s[28:31], 0 offen              // 0000000034D4: E0501000 8007271E
	buffer_load_dword v40, v31, s[28:31], 0 offen              // 0000000034DC: E0501000 8007281F
	buffer_load_dword v41, v32, s[28:31], 0 offen              // 0000000034E4: E0501000 80072920
	buffer_load_dword v42, v33, s[28:31], 0 offen              // 0000000034EC: E0501000 80072A21
	buffer_load_dword v43, v34, s[28:31], 0 offen              // 0000000034F4: E0501000 80072B22
	buffer_load_dword v44, v35, s[28:31], 0 offen              // 0000000034FC: E0501000 80072C23
	buffer_load_dword v45, v36, s[28:31], 0 offen              // 000000003504: E0501000 80072D24
	buffer_load_dword v46, v37, s[28:31], 0 offen              // 00000000350C: E0501000 80072E25
	buffer_load_dword v47, v38, s[28:31], 0 offen              // 000000003514: E0501000 80072F26
	buffer_load_dword v24, v22, s[32:35], 0 offen              // 00000000351C: E0501000 80081816
	s_mul_i32 s60, 4, s65                                      // 000000003524: 923C4184
	s_add_u32 s32, s60, s32                                    // 000000003528: 8020203C
	s_addc_u32 s33, 0, s33                                     // 00000000352C: 82212180
	buffer_load_dword v27, v22, s[32:35], 0 offen              // 000000003530: E0501000 80081B16
	buffer_load_dword v66, s[20:23], 0 offen lds               // 000000003538: E0511000 80050042
	s_add_u32 m0, 0x100, s48                                   // 000000003540: 807C30FF 00000100
	buffer_load_dword v67, s[20:23], 0 offen lds               // 000000003548: E0511000 80050043
	s_add_u32 m0, 0x200, s48                                   // 000000003550: 807C30FF 00000200
	;; [unrolled: 2-line block ×6, first 2 shown]
	buffer_load_dword v72, s[20:23], 0 offen lds               // 000000003598: E0511000 80050048
	s_add_u32 m0, 0x700, s48                                   // 0000000035A0: 807C30FF 00000700
	buffer_load_dword v73, s[20:23], 0 offen lds               // 0000000035A8: E0511000 80050049
	s_add_u32 m0, 0x800, s48                                   // 0000000035B0: 807C30FF 00000800
	buffer_load_dword v74, s[20:23], 0 offen lds               // 0000000035B8: E0511000 8005004A
	s_add_u32 m0, 0x900, s48                                   // 0000000035C0: 807C30FF 00000900
	buffer_load_dword v75, s[20:23], 0 offen lds               // 0000000035C8: E0511000 8005004B
	s_add_u32 m0, 0xa00, s48                                   // 0000000035D0: 807C30FF 00000A00
	buffer_load_dword v76, s[20:23], 0 offen lds               // 0000000035D8: E0511000 8005004C
	s_add_u32 m0, 0xb00, s48                                   // 0000000035E0: 807C30FF 00000B00
	buffer_load_dword v77, s[20:23], 0 offen lds               // 0000000035E8: E0511000 8005004D
	s_add_u32 m0, 0xc00, s48                                   // 0000000035F0: 807C30FF 00000C00
	buffer_load_dword v78, s[20:23], 0 offen lds               // 0000000035F8: E0511000 8005004E
	s_add_u32 m0, 0xd00, s48                                   // 000000003600: 807C30FF 00000D00
	buffer_load_dword v79, s[20:23], 0 offen lds               // 000000003608: E0511000 8005004F
	s_add_u32 m0, 0xe00, s48                                   // 000000003610: 807C30FF 00000E00
	buffer_load_dword v80, s[20:23], 0 offen lds               // 000000003618: E0511000 80050050
	s_add_u32 m0, 0xf00, s48                                   // 000000003620: 807C30FF 00000F00
	buffer_load_dword v81, s[20:23], 0 offen lds               // 000000003628: E0511000 80050051
	s_add_u32 m0, 0x1000, s48                                  // 000000003630: 807C30FF 00001000
	buffer_load_dword v82, s[20:23], 0 offen lds               // 000000003638: E0511000 80050052
	s_add_u32 m0, 0x1100, s48                                  // 000000003640: 807C30FF 00001100
	buffer_load_dword v83, s[20:23], 0 offen lds               // 000000003648: E0511000 80050053
	s_add_u32 m0, 0, s49                                       // 000000003650: 807C3180
	s_add_u32 s20, s57, s20                                    // 000000003654: 80141439
	s_addc_u32 s21, 0, s21                                     // 000000003658: 82151580
	buffer_load_dwordx4 a[144:147], v84, s[24:27], 0 offen     // 00000000365C: E05C1000 80869054
	buffer_load_dwordx4 a[148:151], v84, s[24:27], 0 offen offset:1024// 000000003664: E05C1400 80869454
	s_add_u32 s24, s58, s24                                    // 00000000366C: 8018183A
	s_addc_u32 s25, 0, s25                                     // 000000003670: 82191980
	buffer_load_dword v66, s[20:23], 0 offen lds               // 000000003674: E0511000 80050042
	s_add_u32 m0, 0x100, s49                                   // 00000000367C: 807C31FF 00000100
	buffer_load_dword v67, s[20:23], 0 offen lds               // 000000003684: E0511000 80050043
	s_add_u32 m0, 0x200, s49                                   // 00000000368C: 807C31FF 00000200
	buffer_load_dword v68, s[20:23], 0 offen lds               // 000000003694: E0511000 80050044
	s_add_u32 m0, 0x300, s49                                   // 00000000369C: 807C31FF 00000300
	buffer_load_dword v69, s[20:23], 0 offen lds               // 0000000036A4: E0511000 80050045
	s_add_u32 m0, 0x400, s49                                   // 0000000036AC: 807C31FF 00000400
	buffer_load_dword v70, s[20:23], 0 offen lds               // 0000000036B4: E0511000 80050046
	s_add_u32 m0, 0x500, s49                                   // 0000000036BC: 807C31FF 00000500
	buffer_load_dword v71, s[20:23], 0 offen lds               // 0000000036C4: E0511000 80050047
	s_add_u32 m0, 0x600, s49                                   // 0000000036CC: 807C31FF 00000600
	buffer_load_dword v72, s[20:23], 0 offen lds               // 0000000036D4: E0511000 80050048
	s_add_u32 m0, 0x700, s49                                   // 0000000036DC: 807C31FF 00000700
	buffer_load_dword v73, s[20:23], 0 offen lds               // 0000000036E4: E0511000 80050049
	s_add_u32 m0, 0x800, s49                                   // 0000000036EC: 807C31FF 00000800
	buffer_load_dword v74, s[20:23], 0 offen lds               // 0000000036F4: E0511000 8005004A
	s_add_u32 m0, 0x900, s49                                   // 0000000036FC: 807C31FF 00000900
	buffer_load_dword v75, s[20:23], 0 offen lds               // 000000003704: E0511000 8005004B
	s_add_u32 m0, 0xa00, s49                                   // 00000000370C: 807C31FF 00000A00
	buffer_load_dword v76, s[20:23], 0 offen lds               // 000000003714: E0511000 8005004C
	s_add_u32 m0, 0xb00, s49                                   // 00000000371C: 807C31FF 00000B00
	buffer_load_dword v77, s[20:23], 0 offen lds               // 000000003724: E0511000 8005004D
	s_add_u32 m0, 0xc00, s49                                   // 00000000372C: 807C31FF 00000C00
	buffer_load_dword v78, s[20:23], 0 offen lds               // 000000003734: E0511000 8005004E
	s_add_u32 m0, 0xd00, s49                                   // 00000000373C: 807C31FF 00000D00
	buffer_load_dword v79, s[20:23], 0 offen lds               // 000000003744: E0511000 8005004F
	s_add_u32 m0, 0xe00, s49                                   // 00000000374C: 807C31FF 00000E00
	buffer_load_dword v80, s[20:23], 0 offen lds               // 000000003754: E0511000 80050050
	s_add_u32 m0, 0xf00, s49                                   // 00000000375C: 807C31FF 00000F00
	buffer_load_dword v81, s[20:23], 0 offen lds               // 000000003764: E0511000 80050051
	s_add_u32 m0, 0x1000, s49                                  // 00000000376C: 807C31FF 00001000
	buffer_load_dword v82, s[20:23], 0 offen lds               // 000000003774: E0511000 80050052
	s_add_u32 m0, 0x1100, s49                                  // 00000000377C: 807C31FF 00001100
	buffer_load_dword v83, s[20:23], 0 offen lds               // 000000003784: E0511000 80050053
	s_add_u32 m0, 0, s50                                       // 00000000378C: 807C3280
	s_add_u32 s20, s57, s20                                    // 000000003790: 80141439
	s_addc_u32 s21, 0, s21                                     // 000000003794: 82151580
	buffer_load_dwordx4 a[152:155], v84, s[84:87], 0 offen     // 000000003798: E05C1000 80959854
	buffer_load_dwordx4 a[156:159], v84, s[84:87], 0 offen offset:1024// 0000000037A0: E05C1400 80959C54
	s_add_u32 s84, s83, s84                                    // 0000000037A8: 80545453
	s_addc_u32 s85, 0, s85                                     // 0000000037AC: 82555580
	s_waitcnt vmcnt(22)                                        // 0000000037B0: BF8C4F76
	s_barrier                                                  // 0000000037B4: BF8A0000
	ds_read_b128 a[0:3], v2                                    // 0000000037B8: DBFE0000 00000002
	ds_read_b128 a[4:7], v2 offset:64                          // 0000000037C0: DBFE0040 04000002
	ds_read_b128 a[8:11], v2 offset:512                        // 0000000037C8: DBFE0200 08000002
	ds_read_b128 a[12:15], v2 offset:576                       // 0000000037D0: DBFE0240 0C000002
	ds_read_b128 a[16:19], v2 offset:1024                      // 0000000037D8: DBFE0400 10000002
	ds_read_b128 a[20:23], v2 offset:1088                      // 0000000037E0: DBFE0440 14000002
	ds_read_b128 a[24:27], v2 offset:1536                      // 0000000037E8: DBFE0600 18000002
	ds_read_b128 a[28:31], v2 offset:1600                      // 0000000037F0: DBFE0640 1C000002
	ds_read_b128 a[32:35], v2 offset:2048                      // 0000000037F8: DBFE0800 20000002
	ds_read_b128 a[36:39], v2 offset:2112                      // 000000003800: DBFE0840 24000002
	ds_read_b128 a[40:43], v2 offset:2560                      // 000000003808: DBFE0A00 28000002
	ds_read_b128 a[44:47], v2 offset:2624                      // 000000003810: DBFE0A40 2C000002
	ds_read_b128 a[48:51], v2 offset:3072                      // 000000003818: DBFE0C00 30000002
	ds_read_b128 a[52:55], v2 offset:3136                      // 000000003820: DBFE0C40 34000002
	ds_read_b128 a[56:59], v2 offset:3584                      // 000000003828: DBFE0E00 38000002
	ds_read_b128 a[60:63], v2 offset:3648                      // 000000003830: DBFE0E40 3C000002
	ds_read_b128 a[64:67], v2 offset:4096                      // 000000003838: DBFE1000 40000002
	ds_read_b128 a[68:71], v2 offset:4160                      // 000000003840: DBFE1040 44000002
	s_cmp_lt_i32 s7, 2                                         // 000000003848: BF048207
	s_cbranch_scc0 label_196F                                  // 00000000384C: BF8415D8

0000000000003850 <label_0394>:
	s_waitcnt vmcnt(20) lgkmcnt(0)                             // 000000003850: BF8C4074
	v_mfma_f32_16x16x32_fp8_fp8 v[88:91], a[144:145], a[0:1], v[88:91]// 000000003854: D3F30058 1D620190
	v_mfma_f32_16x16x32_fp8_fp8 v[88:91], a[146:147], a[2:3], v[88:91]// 00000000385C: D3F30058 1D620592
	buffer_load_dwordx4 a[160:163], v84, s[24:27], 0 offen     // 000000003864: E05C1000 8086A054
	v_mfma_f32_16x16x32_fp8_fp8 v[88:91], a[148:149], a[4:5], v[88:91]// 00000000386C: D3F30058 1D620994
	v_mfma_f32_16x16x32_fp8_fp8 v[88:91], a[150:151], a[6:7], v[88:91]// 000000003874: D3F30058 1D620D96
	v_mfma_f32_16x16x32_fp8_fp8 v[92:95], a[144:145], a[8:9], v[92:95]// 00000000387C: D3F3005C 1D721190
	v_mfma_f32_16x16x32_fp8_fp8 v[92:95], a[146:147], a[10:11], v[92:95]// 000000003884: D3F3005C 1D721592
	buffer_load_dwordx4 a[164:167], v84, s[24:27], 0 offen offset:1024// 00000000388C: E05C1400 8086A454
	buffer_load_dword v66, s[20:23], 0 offen lds               // 000000003894: E0511000 80050042
	s_add_u32 m0, 0x100, s50                                   // 00000000389C: 807C32FF 00000100
	v_mfma_f32_16x16x32_fp8_fp8 v[92:95], a[148:149], a[12:13], v[92:95]// 0000000038A4: D3F3005C 1D721994
	v_mfma_f32_16x16x32_fp8_fp8 v[92:95], a[150:151], a[14:15], v[92:95]// 0000000038AC: D3F3005C 1D721D96
	buffer_load_dword v67, s[20:23], 0 offen lds               // 0000000038B4: E0511000 80050043
	s_add_u32 m0, 0x200, s50                                   // 0000000038BC: 807C32FF 00000200
	v_mfma_f32_16x16x32_fp8_fp8 v[96:99], a[144:145], a[16:17], v[96:99]// 0000000038C4: D3F30060 1D822190
	v_mfma_f32_16x16x32_fp8_fp8 v[96:99], a[146:147], a[18:19], v[96:99]// 0000000038CC: D3F30060 1D822592
	buffer_load_dword v68, s[20:23], 0 offen lds               // 0000000038D4: E0511000 80050044
	s_add_u32 m0, 0x300, s50                                   // 0000000038DC: 807C32FF 00000300
	v_mfma_f32_16x16x32_fp8_fp8 v[96:99], a[148:149], a[20:21], v[96:99]// 0000000038E4: D3F30060 1D822994
	v_mfma_f32_16x16x32_fp8_fp8 v[96:99], a[150:151], a[22:23], v[96:99]// 0000000038EC: D3F30060 1D822D96
	buffer_load_dword v69, s[20:23], 0 offen lds               // 0000000038F4: E0511000 80050045
	s_add_u32 m0, 0x400, s50                                   // 0000000038FC: 807C32FF 00000400
	v_mfma_f32_16x16x32_fp8_fp8 v[100:103], a[144:145], a[24:25], v[100:103]// 000000003904: D3F30064 1D923190
	v_mfma_f32_16x16x32_fp8_fp8 v[100:103], a[146:147], a[26:27], v[100:103]// 00000000390C: D3F30064 1D923592
	buffer_load_dword v70, s[20:23], 0 offen lds               // 000000003914: E0511000 80050046
	s_add_u32 m0, 0x500, s50                                   // 00000000391C: 807C32FF 00000500
	v_mfma_f32_16x16x32_fp8_fp8 v[100:103], a[148:149], a[28:29], v[100:103]// 000000003924: D3F30064 1D923994
	v_mfma_f32_16x16x32_fp8_fp8 v[100:103], a[150:151], a[30:31], v[100:103]// 00000000392C: D3F30064 1D923D96
	buffer_load_dword v71, s[20:23], 0 offen lds               // 000000003934: E0511000 80050047
	s_add_u32 m0, 0x600, s50                                   // 00000000393C: 807C32FF 00000600
	v_mfma_f32_16x16x32_fp8_fp8 v[104:107], a[144:145], a[32:33], v[104:107]// 000000003944: D3F30068 1DA24190
	v_mfma_f32_16x16x32_fp8_fp8 v[104:107], a[146:147], a[34:35], v[104:107]// 00000000394C: D3F30068 1DA24592
	buffer_load_dword v72, s[20:23], 0 offen lds               // 000000003954: E0511000 80050048
	s_add_u32 m0, 0x700, s50                                   // 00000000395C: 807C32FF 00000700
	v_mfma_f32_16x16x32_fp8_fp8 v[104:107], a[148:149], a[36:37], v[104:107]// 000000003964: D3F30068 1DA24994
	v_mfma_f32_16x16x32_fp8_fp8 v[104:107], a[150:151], a[38:39], v[104:107]// 00000000396C: D3F30068 1DA24D96
	buffer_load_dword v73, s[20:23], 0 offen lds               // 000000003974: E0511000 80050049
	s_add_u32 m0, 0x800, s50                                   // 00000000397C: 807C32FF 00000800
	v_mfma_f32_16x16x32_fp8_fp8 v[108:111], a[144:145], a[40:41], v[108:111]// 000000003984: D3F3006C 1DB25190
	v_mfma_f32_16x16x32_fp8_fp8 v[108:111], a[146:147], a[42:43], v[108:111]// 00000000398C: D3F3006C 1DB25592
	buffer_load_dword v74, s[20:23], 0 offen lds               // 000000003994: E0511000 8005004A
	s_add_u32 m0, 0x900, s50                                   // 00000000399C: 807C32FF 00000900
	v_mfma_f32_16x16x32_fp8_fp8 v[108:111], a[148:149], a[44:45], v[108:111]// 0000000039A4: D3F3006C 1DB25994
	v_mfma_f32_16x16x32_fp8_fp8 v[108:111], a[150:151], a[46:47], v[108:111]// 0000000039AC: D3F3006C 1DB25D96
	buffer_load_dword v75, s[20:23], 0 offen lds               // 0000000039B4: E0511000 8005004B
	s_add_u32 m0, 0xa00, s50                                   // 0000000039BC: 807C32FF 00000A00
	v_mfma_f32_16x16x32_fp8_fp8 v[112:115], a[144:145], a[48:49], v[112:115]// 0000000039C4: D3F30070 1DC26190
	v_mfma_f32_16x16x32_fp8_fp8 v[112:115], a[146:147], a[50:51], v[112:115]// 0000000039CC: D3F30070 1DC26592
	buffer_load_dword v76, s[20:23], 0 offen lds               // 0000000039D4: E0511000 8005004C
	s_add_u32 m0, 0xb00, s50                                   // 0000000039DC: 807C32FF 00000B00
	v_mfma_f32_16x16x32_fp8_fp8 v[112:115], a[148:149], a[52:53], v[112:115]// 0000000039E4: D3F30070 1DC26994
	v_mfma_f32_16x16x32_fp8_fp8 v[112:115], a[150:151], a[54:55], v[112:115]// 0000000039EC: D3F30070 1DC26D96
	buffer_load_dword v77, s[20:23], 0 offen lds               // 0000000039F4: E0511000 8005004D
	s_add_u32 m0, 0xc00, s50                                   // 0000000039FC: 807C32FF 00000C00
	v_mfma_f32_16x16x32_fp8_fp8 v[116:119], a[144:145], a[56:57], v[116:119]// 000000003A04: D3F30074 1DD27190
	v_mfma_f32_16x16x32_fp8_fp8 v[116:119], a[146:147], a[58:59], v[116:119]// 000000003A0C: D3F30074 1DD27592
	buffer_load_dword v78, s[20:23], 0 offen lds               // 000000003A14: E0511000 8005004E
	s_add_u32 m0, 0xd00, s50                                   // 000000003A1C: 807C32FF 00000D00
	v_mfma_f32_16x16x32_fp8_fp8 v[116:119], a[148:149], a[60:61], v[116:119]// 000000003A24: D3F30074 1DD27994
	v_mfma_f32_16x16x32_fp8_fp8 v[116:119], a[150:151], a[62:63], v[116:119]// 000000003A2C: D3F30074 1DD27D96
	buffer_load_dword v79, s[20:23], 0 offen lds               // 000000003A34: E0511000 8005004F
	s_add_u32 m0, 0xe00, s50                                   // 000000003A3C: 807C32FF 00000E00
	v_mfma_f32_16x16x32_fp8_fp8 v[120:123], a[144:145], a[64:65], v[120:123]// 000000003A44: D3F30078 1DE28190
	v_mfma_f32_16x16x32_fp8_fp8 v[120:123], a[146:147], a[66:67], v[120:123]// 000000003A4C: D3F30078 1DE28592
	buffer_load_dword v80, s[20:23], 0 offen lds               // 000000003A54: E0511000 80050050
	s_add_u32 m0, 0xf00, s50                                   // 000000003A5C: 807C32FF 00000F00
	v_mfma_f32_16x16x32_fp8_fp8 v[120:123], a[148:149], a[68:69], v[120:123]// 000000003A64: D3F30078 1DE28994
	v_mfma_f32_16x16x32_fp8_fp8 v[120:123], a[150:151], a[70:71], v[120:123]// 000000003A6C: D3F30078 1DE28D96
	buffer_load_dword v81, s[20:23], 0 offen lds               // 000000003A74: E0511000 80050051
	s_add_u32 m0, 0x1000, s50                                  // 000000003A7C: 807C32FF 00001000
	buffer_load_dword v82, s[20:23], 0 offen lds               // 000000003A84: E0511000 80050052
	s_add_u32 m0, 0x1100, s50                                  // 000000003A8C: 807C32FF 00001100
	buffer_load_dword v83, s[20:23], 0 offen lds               // 000000003A94: E0511000 80050053
	s_add_u32 m0, 0, s48                                       // 000000003A9C: 807C3080
	s_waitcnt vmcnt(20)                                        // 000000003AA0: BF8C4F74
	s_barrier                                                  // 000000003AA4: BF8A0000
	v_mfma_f32_16x16x32_fp8_fp8 v[124:127], a[152:153], a[0:1], v[124:127]// 000000003AA8: D3F3007C 1DF20198
	v_mfma_f32_16x16x32_fp8_fp8 v[124:127], a[154:155], a[2:3], v[124:127]// 000000003AB0: D3F3007C 1DF2059A
	buffer_load_dwordx4 a[144:147], v84, s[84:87], 0 offen     // 000000003AB8: E05C1000 80959054
	v_mfma_f32_16x16x32_fp8_fp8 v[124:127], a[156:157], a[4:5], v[124:127]// 000000003AC0: D3F3007C 1DF2099C
	v_mfma_f32_16x16x32_fp8_fp8 v[124:127], a[158:159], a[6:7], v[124:127]// 000000003AC8: D3F3007C 1DF20D9E
	ds_read_b128 a[72:75], v2 offset:18560                     // 000000003AD0: DBFE4880 48000002
	ds_read_b128 a[76:79], v2 offset:18624                     // 000000003AD8: DBFE48C0 4C000002
	v_mfma_f32_16x16x32_fp8_fp8 v[128:131], a[152:153], a[8:9], v[128:131]// 000000003AE0: D3F30080 1E021198
	v_mfma_f32_16x16x32_fp8_fp8 v[128:131], a[154:155], a[10:11], v[128:131]// 000000003AE8: D3F30080 1E02159A
	buffer_load_dwordx4 a[148:151], v84, s[84:87], 0 offen offset:1024// 000000003AF0: E05C1400 80959454
	v_mfma_f32_16x16x32_fp8_fp8 v[128:131], a[156:157], a[12:13], v[128:131]// 000000003AF8: D3F30080 1E02199C
	v_mfma_f32_16x16x32_fp8_fp8 v[128:131], a[158:159], a[14:15], v[128:131]// 000000003B00: D3F30080 1E021D9E
	ds_read_b128 a[80:83], v2 offset:19072                     // 000000003B08: DBFE4A80 50000002
	ds_read_b128 a[84:87], v2 offset:19136                     // 000000003B10: DBFE4AC0 54000002
	v_mfma_f32_16x16x32_fp8_fp8 v[132:135], a[152:153], a[16:17], v[132:135]// 000000003B18: D3F30084 1E122198
	v_mfma_f32_16x16x32_fp8_fp8 v[132:135], a[154:155], a[18:19], v[132:135]// 000000003B20: D3F30084 1E12259A
	v_mfma_f32_16x16x32_fp8_fp8 v[132:135], a[156:157], a[20:21], v[132:135]// 000000003B28: D3F30084 1E12299C
	v_mfma_f32_16x16x32_fp8_fp8 v[132:135], a[158:159], a[22:23], v[132:135]// 000000003B30: D3F30084 1E122D9E
	ds_read_b128 a[88:91], v2 offset:19584                     // 000000003B38: DBFE4C80 58000002
	ds_read_b128 a[92:95], v2 offset:19648                     // 000000003B40: DBFE4CC0 5C000002
	v_mfma_f32_16x16x32_fp8_fp8 v[136:139], a[152:153], a[24:25], v[136:139]// 000000003B48: D3F30088 1E223198
	v_mfma_f32_16x16x32_fp8_fp8 v[136:139], a[154:155], a[26:27], v[136:139]// 000000003B50: D3F30088 1E22359A
	v_mfma_f32_16x16x32_fp8_fp8 v[136:139], a[156:157], a[28:29], v[136:139]// 000000003B58: D3F30088 1E22399C
	v_mfma_f32_16x16x32_fp8_fp8 v[136:139], a[158:159], a[30:31], v[136:139]// 000000003B60: D3F30088 1E223D9E
	ds_read_b128 a[96:99], v2 offset:20096                     // 000000003B68: DBFE4E80 60000002
	ds_read_b128 a[100:103], v2 offset:20160                   // 000000003B70: DBFE4EC0 64000002
	v_mfma_f32_16x16x32_fp8_fp8 v[140:143], a[152:153], a[32:33], v[140:143]// 000000003B78: D3F3008C 1E324198
	v_mfma_f32_16x16x32_fp8_fp8 v[140:143], a[154:155], a[34:35], v[140:143]// 000000003B80: D3F3008C 1E32459A
	v_mfma_f32_16x16x32_fp8_fp8 v[140:143], a[156:157], a[36:37], v[140:143]// 000000003B88: D3F3008C 1E32499C
	v_mfma_f32_16x16x32_fp8_fp8 v[140:143], a[158:159], a[38:39], v[140:143]// 000000003B90: D3F3008C 1E324D9E
	ds_read_b128 a[104:107], v2 offset:20608                   // 000000003B98: DBFE5080 68000002
	ds_read_b128 a[108:111], v2 offset:20672                   // 000000003BA0: DBFE50C0 6C000002
	v_mfma_f32_16x16x32_fp8_fp8 v[144:147], a[152:153], a[40:41], v[144:147]// 000000003BA8: D3F30090 1E425198
	v_mfma_f32_16x16x32_fp8_fp8 v[144:147], a[154:155], a[42:43], v[144:147]// 000000003BB0: D3F30090 1E42559A
	v_mfma_f32_16x16x32_fp8_fp8 v[144:147], a[156:157], a[44:45], v[144:147]// 000000003BB8: D3F30090 1E42599C
	v_mfma_f32_16x16x32_fp8_fp8 v[144:147], a[158:159], a[46:47], v[144:147]// 000000003BC0: D3F30090 1E425D9E
	ds_read_b128 a[112:115], v2 offset:21120                   // 000000003BC8: DBFE5280 70000002
	ds_read_b128 a[116:119], v2 offset:21184                   // 000000003BD0: DBFE52C0 74000002
	v_mfma_f32_16x16x32_fp8_fp8 v[148:151], a[152:153], a[48:49], v[148:151]// 000000003BD8: D3F30094 1E526198
	v_mfma_f32_16x16x32_fp8_fp8 v[148:151], a[154:155], a[50:51], v[148:151]// 000000003BE0: D3F30094 1E52659A
	v_mfma_f32_16x16x32_fp8_fp8 v[148:151], a[156:157], a[52:53], v[148:151]// 000000003BE8: D3F30094 1E52699C
	v_mfma_f32_16x16x32_fp8_fp8 v[148:151], a[158:159], a[54:55], v[148:151]// 000000003BF0: D3F30094 1E526D9E
	ds_read_b128 a[120:123], v2 offset:21632                   // 000000003BF8: DBFE5480 78000002
	ds_read_b128 a[124:127], v2 offset:21696                   // 000000003C00: DBFE54C0 7C000002
	v_mfma_f32_16x16x32_fp8_fp8 v[152:155], a[152:153], a[56:57], v[152:155]// 000000003C08: D3F30098 1E627198
	s_add_u32 s60, 0x180, s80                                  // 000000003C10: 803C50FF 00000180
	s_cmp_lt_u32 s60, s81                                      // 000000003C18: BF0A513C
	s_cselect_b32 s57, s57, 0                                  // 000000003C1C: 85398039
	v_mfma_f32_16x16x32_fp8_fp8 v[152:155], a[154:155], a[58:59], v[152:155]// 000000003C20: D3F30098 1E62759A
	s_add_u32 s60, 0x100, s80                                  // 000000003C28: 803C50FF 00000100
	s_cmp_lt_u32 s60, s81                                      // 000000003C30: BF0A513C
	s_cselect_b32 s58, s58, 0                                  // 000000003C34: 853A803A
	v_mfma_f32_16x16x32_fp8_fp8 v[152:155], a[156:157], a[60:61], v[152:155]// 000000003C38: D3F30098 1E62799C
	s_add_u32 s60, 0x100, s80                                  // 000000003C40: 803C50FF 00000100
	s_cmp_lt_u32 s60, s81                                      // 000000003C48: BF0A513C
	s_cselect_b32 s83, s83, 0                                  // 000000003C4C: 85538053
	v_mfma_f32_16x16x32_fp8_fp8 v[152:155], a[158:159], a[62:63], v[152:155]// 000000003C50: D3F30098 1E627D9E
	ds_read_b128 a[128:131], v2 offset:22144                   // 000000003C58: DBFE5680 80000002
	ds_read_b128 a[132:135], v2 offset:22208                   // 000000003C60: DBFE56C0 84000002
	s_add_u32 s24, s58, s24                                    // 000000003C68: 8018183A
	s_addc_u32 s25, 0, s25                                     // 000000003C6C: 82191980
	v_mfma_f32_16x16x32_fp8_fp8 v[156:159], a[152:153], a[64:65], v[156:159]// 000000003C70: D3F3009C 1E728198
	s_add_u32 s20, s57, s20                                    // 000000003C78: 80141439
	s_addc_u32 s21, 0, s21                                     // 000000003C7C: 82151580
	v_mfma_f32_16x16x32_fp8_fp8 v[156:159], a[154:155], a[66:67], v[156:159]// 000000003C80: D3F3009C 1E72859A
	s_add_u32 s84, s83, s84                                    // 000000003C88: 80545453
	s_addc_u32 s85, 0, s85                                     // 000000003C8C: 82555580
	v_mfma_f32_16x16x32_fp8_fp8 v[156:159], a[156:157], a[68:69], v[156:159]// 000000003C90: D3F3009C 1E72899C
	v_mfma_f32_16x16x32_fp8_fp8 v[156:159], a[158:159], a[70:71], v[156:159]// 000000003C98: D3F3009C 1E728D9E
	ds_read_b128 a[136:139], v2 offset:22656                   // 000000003CA0: DBFE5880 88000002
	ds_read_b128 a[140:143], v2 offset:22720                   // 000000003CA8: DBFE58C0 8C000002
	s_addk_i32 s80, 0x80                                       // 000000003CB0: B7500080
	s_cmp_lt_i32 s80, s81                                      // 000000003CB4: BF045150
	s_cbranch_scc0 label_0A37                                  // 000000003CB8: BF840588
	s_waitcnt vmcnt(20) lgkmcnt(0)                             // 000000003CBC: BF8C4074
	v_mfma_f32_16x16x32_fp8_fp8 v[88:91], a[160:161], a[72:73], v[88:91]// 000000003CC0: D3F30058 1D6291A0
	v_mfma_f32_16x16x32_fp8_fp8 v[88:91], a[162:163], a[74:75], v[88:91]// 000000003CC8: D3F30058 1D6295A2
	buffer_load_dwordx4 a[152:155], v84, s[24:27], 0 offen     // 000000003CD0: E05C1000 80869854
	v_mfma_f32_16x16x32_fp8_fp8 v[88:91], a[164:165], a[76:77], v[88:91]// 000000003CD8: D3F30058 1D6299A4
	v_mfma_f32_16x16x32_fp8_fp8 v[88:91], a[166:167], a[78:79], v[88:91]// 000000003CE0: D3F30058 1D629DA6
	v_mfma_f32_16x16x32_fp8_fp8 v[92:95], a[160:161], a[80:81], v[92:95]// 000000003CE8: D3F3005C 1D72A1A0
	v_mfma_f32_16x16x32_fp8_fp8 v[92:95], a[162:163], a[82:83], v[92:95]// 000000003CF0: D3F3005C 1D72A5A2
	buffer_load_dwordx4 a[156:159], v84, s[24:27], 0 offen offset:1024// 000000003CF8: E05C1400 80869C54
	buffer_load_dword v66, s[20:23], 0 offen lds               // 000000003D00: E0511000 80050042
	s_add_u32 m0, 0x100, s48                                   // 000000003D08: 807C30FF 00000100
	v_mfma_f32_16x16x32_fp8_fp8 v[92:95], a[164:165], a[84:85], v[92:95]// 000000003D10: D3F3005C 1D72A9A4
	v_mfma_f32_16x16x32_fp8_fp8 v[92:95], a[166:167], a[86:87], v[92:95]// 000000003D18: D3F3005C 1D72ADA6
	buffer_load_dword v67, s[20:23], 0 offen lds               // 000000003D20: E0511000 80050043
	s_add_u32 m0, 0x200, s48                                   // 000000003D28: 807C30FF 00000200
	v_mfma_f32_16x16x32_fp8_fp8 v[96:99], a[160:161], a[88:89], v[96:99]// 000000003D30: D3F30060 1D82B1A0
	v_mfma_f32_16x16x32_fp8_fp8 v[96:99], a[162:163], a[90:91], v[96:99]// 000000003D38: D3F30060 1D82B5A2
	buffer_load_dword v68, s[20:23], 0 offen lds               // 000000003D40: E0511000 80050044
	s_add_u32 m0, 0x300, s48                                   // 000000003D48: 807C30FF 00000300
	v_mfma_f32_16x16x32_fp8_fp8 v[96:99], a[164:165], a[92:93], v[96:99]// 000000003D50: D3F30060 1D82B9A4
	v_mfma_f32_16x16x32_fp8_fp8 v[96:99], a[166:167], a[94:95], v[96:99]// 000000003D58: D3F30060 1D82BDA6
	buffer_load_dword v69, s[20:23], 0 offen lds               // 000000003D60: E0511000 80050045
	s_add_u32 m0, 0x400, s48                                   // 000000003D68: 807C30FF 00000400
	v_mfma_f32_16x16x32_fp8_fp8 v[100:103], a[160:161], a[96:97], v[100:103]// 000000003D70: D3F30064 1D92C1A0
	v_mfma_f32_16x16x32_fp8_fp8 v[100:103], a[162:163], a[98:99], v[100:103]// 000000003D78: D3F30064 1D92C5A2
	buffer_load_dword v70, s[20:23], 0 offen lds               // 000000003D80: E0511000 80050046
	s_add_u32 m0, 0x500, s48                                   // 000000003D88: 807C30FF 00000500
	v_mfma_f32_16x16x32_fp8_fp8 v[100:103], a[164:165], a[100:101], v[100:103]// 000000003D90: D3F30064 1D92C9A4
	v_mfma_f32_16x16x32_fp8_fp8 v[100:103], a[166:167], a[102:103], v[100:103]// 000000003D98: D3F30064 1D92CDA6
	buffer_load_dword v71, s[20:23], 0 offen lds               // 000000003DA0: E0511000 80050047
	s_add_u32 m0, 0x600, s48                                   // 000000003DA8: 807C30FF 00000600
	v_mfma_f32_16x16x32_fp8_fp8 v[104:107], a[160:161], a[104:105], v[104:107]// 000000003DB0: D3F30068 1DA2D1A0
	v_mfma_f32_16x16x32_fp8_fp8 v[104:107], a[162:163], a[106:107], v[104:107]// 000000003DB8: D3F30068 1DA2D5A2
	buffer_load_dword v72, s[20:23], 0 offen lds               // 000000003DC0: E0511000 80050048
	s_add_u32 m0, 0x700, s48                                   // 000000003DC8: 807C30FF 00000700
	v_mfma_f32_16x16x32_fp8_fp8 v[104:107], a[164:165], a[108:109], v[104:107]// 000000003DD0: D3F30068 1DA2D9A4
	v_mfma_f32_16x16x32_fp8_fp8 v[104:107], a[166:167], a[110:111], v[104:107]// 000000003DD8: D3F30068 1DA2DDA6
	buffer_load_dword v73, s[20:23], 0 offen lds               // 000000003DE0: E0511000 80050049
	s_add_u32 m0, 0x800, s48                                   // 000000003DE8: 807C30FF 00000800
	v_mfma_f32_16x16x32_fp8_fp8 v[108:111], a[160:161], a[112:113], v[108:111]// 000000003DF0: D3F3006C 1DB2E1A0
	v_mfma_f32_16x16x32_fp8_fp8 v[108:111], a[162:163], a[114:115], v[108:111]// 000000003DF8: D3F3006C 1DB2E5A2
	buffer_load_dword v74, s[20:23], 0 offen lds               // 000000003E00: E0511000 8005004A
	s_add_u32 m0, 0x900, s48                                   // 000000003E08: 807C30FF 00000900
	v_mfma_f32_16x16x32_fp8_fp8 v[108:111], a[164:165], a[116:117], v[108:111]// 000000003E10: D3F3006C 1DB2E9A4
	v_mfma_f32_16x16x32_fp8_fp8 v[108:111], a[166:167], a[118:119], v[108:111]// 000000003E18: D3F3006C 1DB2EDA6
	buffer_load_dword v75, s[20:23], 0 offen lds               // 000000003E20: E0511000 8005004B
	s_add_u32 m0, 0xa00, s48                                   // 000000003E28: 807C30FF 00000A00
	v_mfma_f32_16x16x32_fp8_fp8 v[112:115], a[160:161], a[120:121], v[112:115]// 000000003E30: D3F30070 1DC2F1A0
	v_mfma_f32_16x16x32_fp8_fp8 v[112:115], a[162:163], a[122:123], v[112:115]// 000000003E38: D3F30070 1DC2F5A2
	buffer_load_dword v76, s[20:23], 0 offen lds               // 000000003E40: E0511000 8005004C
	s_add_u32 m0, 0xb00, s48                                   // 000000003E48: 807C30FF 00000B00
	v_mfma_f32_16x16x32_fp8_fp8 v[112:115], a[164:165], a[124:125], v[112:115]// 000000003E50: D3F30070 1DC2F9A4
	v_mfma_f32_16x16x32_fp8_fp8 v[112:115], a[166:167], a[126:127], v[112:115]// 000000003E58: D3F30070 1DC2FDA6
	buffer_load_dword v77, s[20:23], 0 offen lds               // 000000003E60: E0511000 8005004D
	s_add_u32 m0, 0xc00, s48                                   // 000000003E68: 807C30FF 00000C00
	v_mfma_f32_16x16x32_fp8_fp8 v[116:119], a[160:161], a[128:129], v[116:119]// 000000003E70: D3F30074 1DD301A0
	v_mfma_f32_16x16x32_fp8_fp8 v[116:119], a[162:163], a[130:131], v[116:119]// 000000003E78: D3F30074 1DD305A2
	buffer_load_dword v78, s[20:23], 0 offen lds               // 000000003E80: E0511000 8005004E
	s_add_u32 m0, 0xd00, s48                                   // 000000003E88: 807C30FF 00000D00
	v_mfma_f32_16x16x32_fp8_fp8 v[116:119], a[164:165], a[132:133], v[116:119]// 000000003E90: D3F30074 1DD309A4
	v_mfma_f32_16x16x32_fp8_fp8 v[116:119], a[166:167], a[134:135], v[116:119]// 000000003E98: D3F30074 1DD30DA6
	buffer_load_dword v79, s[20:23], 0 offen lds               // 000000003EA0: E0511000 8005004F
	s_add_u32 m0, 0xe00, s48                                   // 000000003EA8: 807C30FF 00000E00
	v_mfma_f32_16x16x32_fp8_fp8 v[120:123], a[160:161], a[136:137], v[120:123]// 000000003EB0: D3F30078 1DE311A0
	v_mfma_f32_16x16x32_fp8_fp8 v[120:123], a[162:163], a[138:139], v[120:123]// 000000003EB8: D3F30078 1DE315A2
	buffer_load_dword v80, s[20:23], 0 offen lds               // 000000003EC0: E0511000 80050050
	s_add_u32 m0, 0xf00, s48                                   // 000000003EC8: 807C30FF 00000F00
	v_mfma_f32_16x16x32_fp8_fp8 v[120:123], a[164:165], a[140:141], v[120:123]// 000000003ED0: D3F30078 1DE319A4
	v_mfma_f32_16x16x32_fp8_fp8 v[120:123], a[166:167], a[142:143], v[120:123]// 000000003ED8: D3F30078 1DE31DA6
	buffer_load_dword v81, s[20:23], 0 offen lds               // 000000003EE0: E0511000 80050051
	s_add_u32 m0, 0x1000, s48                                  // 000000003EE8: 807C30FF 00001000
	buffer_load_dword v82, s[20:23], 0 offen lds               // 000000003EF0: E0511000 80050052
	s_add_u32 m0, 0x1100, s48                                  // 000000003EF8: 807C30FF 00001100
	buffer_load_dword v83, s[20:23], 0 offen lds               // 000000003F00: E0511000 80050053
	s_add_u32 m0, 0, s49                                       // 000000003F08: 807C3180
	s_waitcnt vmcnt(20)                                        // 000000003F0C: BF8C4F74
	s_barrier                                                  // 000000003F10: BF8A0000
	v_mfma_f32_16x16x32_fp8_fp8 v[124:127], a[144:145], a[72:73], v[124:127]// 000000003F14: D3F3007C 1DF29190
	v_mfma_f32_16x16x32_fp8_fp8 v[124:127], a[146:147], a[74:75], v[124:127]// 000000003F1C: D3F3007C 1DF29592
	buffer_load_dwordx4 a[160:163], v84, s[84:87], 0 offen     // 000000003F24: E05C1000 8095A054
	v_mfma_f32_16x16x32_fp8_fp8 v[124:127], a[148:149], a[76:77], v[124:127]// 000000003F2C: D3F3007C 1DF29994
	v_mfma_f32_16x16x32_fp8_fp8 v[124:127], a[150:151], a[78:79], v[124:127]// 000000003F34: D3F3007C 1DF29D96
	ds_read_b128 a[0:3], v2 offset:37120                       // 000000003F3C: DBFE9100 00000002
	ds_read_b128 a[4:7], v2 offset:37184                       // 000000003F44: DBFE9140 04000002
	v_mfma_f32_16x16x32_fp8_fp8 v[128:131], a[144:145], a[80:81], v[128:131]// 000000003F4C: D3F30080 1E02A190
	v_mfma_f32_16x16x32_fp8_fp8 v[128:131], a[146:147], a[82:83], v[128:131]// 000000003F54: D3F30080 1E02A592
	buffer_load_dwordx4 a[164:167], v84, s[84:87], 0 offen offset:1024// 000000003F5C: E05C1400 8095A454
	v_mfma_f32_16x16x32_fp8_fp8 v[128:131], a[148:149], a[84:85], v[128:131]// 000000003F64: D3F30080 1E02A994
	v_mfma_f32_16x16x32_fp8_fp8 v[128:131], a[150:151], a[86:87], v[128:131]// 000000003F6C: D3F30080 1E02AD96
	ds_read_b128 a[8:11], v2 offset:37632                      // 000000003F74: DBFE9300 08000002
	ds_read_b128 a[12:15], v2 offset:37696                     // 000000003F7C: DBFE9340 0C000002
	v_mfma_f32_16x16x32_fp8_fp8 v[132:135], a[144:145], a[88:89], v[132:135]// 000000003F84: D3F30084 1E12B190
	v_mfma_f32_16x16x32_fp8_fp8 v[132:135], a[146:147], a[90:91], v[132:135]// 000000003F8C: D3F30084 1E12B592
	v_mfma_f32_16x16x32_fp8_fp8 v[132:135], a[148:149], a[92:93], v[132:135]// 000000003F94: D3F30084 1E12B994
	v_mfma_f32_16x16x32_fp8_fp8 v[132:135], a[150:151], a[94:95], v[132:135]// 000000003F9C: D3F30084 1E12BD96
	ds_read_b128 a[16:19], v2 offset:38144                     // 000000003FA4: DBFE9500 10000002
	ds_read_b128 a[20:23], v2 offset:38208                     // 000000003FAC: DBFE9540 14000002
	v_mfma_f32_16x16x32_fp8_fp8 v[136:139], a[144:145], a[96:97], v[136:139]// 000000003FB4: D3F30088 1E22C190
	v_mfma_f32_16x16x32_fp8_fp8 v[136:139], a[146:147], a[98:99], v[136:139]// 000000003FBC: D3F30088 1E22C592
	v_mfma_f32_16x16x32_fp8_fp8 v[136:139], a[148:149], a[100:101], v[136:139]// 000000003FC4: D3F30088 1E22C994
	v_mfma_f32_16x16x32_fp8_fp8 v[136:139], a[150:151], a[102:103], v[136:139]// 000000003FCC: D3F30088 1E22CD96
	ds_read_b128 a[24:27], v2 offset:38656                     // 000000003FD4: DBFE9700 18000002
	ds_read_b128 a[28:31], v2 offset:38720                     // 000000003FDC: DBFE9740 1C000002
	v_mfma_f32_16x16x32_fp8_fp8 v[140:143], a[144:145], a[104:105], v[140:143]// 000000003FE4: D3F3008C 1E32D190
	v_mfma_f32_16x16x32_fp8_fp8 v[140:143], a[146:147], a[106:107], v[140:143]// 000000003FEC: D3F3008C 1E32D592
	v_mfma_f32_16x16x32_fp8_fp8 v[140:143], a[148:149], a[108:109], v[140:143]// 000000003FF4: D3F3008C 1E32D994
	v_mfma_f32_16x16x32_fp8_fp8 v[140:143], a[150:151], a[110:111], v[140:143]// 000000003FFC: D3F3008C 1E32DD96
	ds_read_b128 a[32:35], v2 offset:39168                     // 000000004004: DBFE9900 20000002
	ds_read_b128 a[36:39], v2 offset:39232                     // 00000000400C: DBFE9940 24000002
	v_mfma_f32_16x16x32_fp8_fp8 v[144:147], a[144:145], a[112:113], v[144:147]// 000000004014: D3F30090 1E42E190
	v_mfma_f32_16x16x32_fp8_fp8 v[144:147], a[146:147], a[114:115], v[144:147]// 00000000401C: D3F30090 1E42E592
	v_mfma_f32_16x16x32_fp8_fp8 v[144:147], a[148:149], a[116:117], v[144:147]// 000000004024: D3F30090 1E42E994
	v_mfma_f32_16x16x32_fp8_fp8 v[144:147], a[150:151], a[118:119], v[144:147]// 00000000402C: D3F30090 1E42ED96
	ds_read_b128 a[40:43], v2 offset:39680                     // 000000004034: DBFE9B00 28000002
	ds_read_b128 a[44:47], v2 offset:39744                     // 00000000403C: DBFE9B40 2C000002
	v_mfma_f32_16x16x32_fp8_fp8 v[148:151], a[144:145], a[120:121], v[148:151]// 000000004044: D3F30094 1E52F190
	v_mfma_f32_16x16x32_fp8_fp8 v[148:151], a[146:147], a[122:123], v[148:151]// 00000000404C: D3F30094 1E52F592
	v_mfma_f32_16x16x32_fp8_fp8 v[148:151], a[148:149], a[124:125], v[148:151]// 000000004054: D3F30094 1E52F994
	v_mfma_f32_16x16x32_fp8_fp8 v[148:151], a[150:151], a[126:127], v[148:151]// 00000000405C: D3F30094 1E52FD96
	ds_read_b128 a[48:51], v2 offset:40192                     // 000000004064: DBFE9D00 30000002
	ds_read_b128 a[52:55], v2 offset:40256                     // 00000000406C: DBFE9D40 34000002
	v_mfma_f32_16x16x32_fp8_fp8 v[152:155], a[144:145], a[128:129], v[152:155]// 000000004074: D3F30098 1E630190
	s_add_u32 s60, 0x180, s80                                  // 00000000407C: 803C50FF 00000180
	s_cmp_lt_u32 s60, s81                                      // 000000004084: BF0A513C
	s_cselect_b32 s57, s57, 0                                  // 000000004088: 85398039
	v_mfma_f32_16x16x32_fp8_fp8 v[152:155], a[146:147], a[130:131], v[152:155]// 00000000408C: D3F30098 1E630592
	s_add_u32 s60, 0x100, s80                                  // 000000004094: 803C50FF 00000100
	s_cmp_lt_u32 s60, s81                                      // 00000000409C: BF0A513C
	s_cselect_b32 s58, s58, 0                                  // 0000000040A0: 853A803A
	v_mfma_f32_16x16x32_fp8_fp8 v[152:155], a[148:149], a[132:133], v[152:155]// 0000000040A4: D3F30098 1E630994
	s_add_u32 s60, 0x100, s80                                  // 0000000040AC: 803C50FF 00000100
	s_cmp_lt_u32 s60, s81                                      // 0000000040B4: BF0A513C
	s_cselect_b32 s83, s83, 0                                  // 0000000040B8: 85538053
	v_mfma_f32_16x16x32_fp8_fp8 v[152:155], a[150:151], a[134:135], v[152:155]// 0000000040BC: D3F30098 1E630D96
	ds_read_b128 a[56:59], v2 offset:40704                     // 0000000040C4: DBFE9F00 38000002
	ds_read_b128 a[60:63], v2 offset:40768                     // 0000000040CC: DBFE9F40 3C000002
	s_add_u32 s24, s58, s24                                    // 0000000040D4: 8018183A
	s_addc_u32 s25, 0, s25                                     // 0000000040D8: 82191980
	v_mfma_f32_16x16x32_fp8_fp8 v[156:159], a[144:145], a[136:137], v[156:159]// 0000000040DC: D3F3009C 1E731190
	s_add_u32 s20, s57, s20                                    // 0000000040E4: 80141439
	s_addc_u32 s21, 0, s21                                     // 0000000040E8: 82151580
	v_mfma_f32_16x16x32_fp8_fp8 v[156:159], a[146:147], a[138:139], v[156:159]// 0000000040EC: D3F3009C 1E731592
	s_add_u32 s84, s83, s84                                    // 0000000040F4: 80545453
	s_addc_u32 s85, 0, s85                                     // 0000000040F8: 82555580
	v_mfma_f32_16x16x32_fp8_fp8 v[156:159], a[148:149], a[140:141], v[156:159]// 0000000040FC: D3F3009C 1E731994
	v_mfma_f32_16x16x32_fp8_fp8 v[156:159], a[150:151], a[142:143], v[156:159]// 000000004104: D3F3009C 1E731D96
	ds_read_b128 a[64:67], v2 offset:41216                     // 00000000410C: DBFEA100 40000002
	ds_read_b128 a[68:71], v2 offset:41280                     // 000000004114: DBFEA140 44000002
	s_addk_i32 s80, 0x80                                       // 00000000411C: B7500080
	s_cmp_lt_i32 s80, s81                                      // 000000004120: BF045150
	s_cbranch_scc0 label_0A37                                  // 000000004124: BF84046D
	s_waitcnt vmcnt(20) lgkmcnt(0)                             // 000000004128: BF8C4074
	v_mfma_f32_16x16x32_fp8_fp8 v[88:91], a[152:153], a[0:1], v[88:91]// 00000000412C: D3F30058 1D620198
	v_mfma_f32_16x16x32_fp8_fp8 v[88:91], a[154:155], a[2:3], v[88:91]// 000000004134: D3F30058 1D62059A
	buffer_load_dwordx4 a[144:147], v84, s[24:27], 0 offen     // 00000000413C: E05C1000 80869054
	v_mfma_f32_16x16x32_fp8_fp8 v[88:91], a[156:157], a[4:5], v[88:91]// 000000004144: D3F30058 1D62099C
	v_mfma_f32_16x16x32_fp8_fp8 v[88:91], a[158:159], a[6:7], v[88:91]// 00000000414C: D3F30058 1D620D9E
	v_mfma_f32_16x16x32_fp8_fp8 v[92:95], a[152:153], a[8:9], v[92:95]// 000000004154: D3F3005C 1D721198
	v_mfma_f32_16x16x32_fp8_fp8 v[92:95], a[154:155], a[10:11], v[92:95]// 00000000415C: D3F3005C 1D72159A
	buffer_load_dwordx4 a[148:151], v84, s[24:27], 0 offen offset:1024// 000000004164: E05C1400 80869454
	buffer_load_dword v66, s[20:23], 0 offen lds               // 00000000416C: E0511000 80050042
	s_add_u32 m0, 0x100, s49                                   // 000000004174: 807C31FF 00000100
	v_mfma_f32_16x16x32_fp8_fp8 v[92:95], a[156:157], a[12:13], v[92:95]// 00000000417C: D3F3005C 1D72199C
	v_mfma_f32_16x16x32_fp8_fp8 v[92:95], a[158:159], a[14:15], v[92:95]// 000000004184: D3F3005C 1D721D9E
	buffer_load_dword v67, s[20:23], 0 offen lds               // 00000000418C: E0511000 80050043
	s_add_u32 m0, 0x200, s49                                   // 000000004194: 807C31FF 00000200
	v_mfma_f32_16x16x32_fp8_fp8 v[96:99], a[152:153], a[16:17], v[96:99]// 00000000419C: D3F30060 1D822198
	v_mfma_f32_16x16x32_fp8_fp8 v[96:99], a[154:155], a[18:19], v[96:99]// 0000000041A4: D3F30060 1D82259A
	buffer_load_dword v68, s[20:23], 0 offen lds               // 0000000041AC: E0511000 80050044
	s_add_u32 m0, 0x300, s49                                   // 0000000041B4: 807C31FF 00000300
	v_mfma_f32_16x16x32_fp8_fp8 v[96:99], a[156:157], a[20:21], v[96:99]// 0000000041BC: D3F30060 1D82299C
	v_mfma_f32_16x16x32_fp8_fp8 v[96:99], a[158:159], a[22:23], v[96:99]// 0000000041C4: D3F30060 1D822D9E
	buffer_load_dword v69, s[20:23], 0 offen lds               // 0000000041CC: E0511000 80050045
	s_add_u32 m0, 0x400, s49                                   // 0000000041D4: 807C31FF 00000400
	v_mfma_f32_16x16x32_fp8_fp8 v[100:103], a[152:153], a[24:25], v[100:103]// 0000000041DC: D3F30064 1D923198
	v_mfma_f32_16x16x32_fp8_fp8 v[100:103], a[154:155], a[26:27], v[100:103]// 0000000041E4: D3F30064 1D92359A
	buffer_load_dword v70, s[20:23], 0 offen lds               // 0000000041EC: E0511000 80050046
	s_add_u32 m0, 0x500, s49                                   // 0000000041F4: 807C31FF 00000500
	v_mfma_f32_16x16x32_fp8_fp8 v[100:103], a[156:157], a[28:29], v[100:103]// 0000000041FC: D3F30064 1D92399C
	v_mfma_f32_16x16x32_fp8_fp8 v[100:103], a[158:159], a[30:31], v[100:103]// 000000004204: D3F30064 1D923D9E
	buffer_load_dword v71, s[20:23], 0 offen lds               // 00000000420C: E0511000 80050047
	s_add_u32 m0, 0x600, s49                                   // 000000004214: 807C31FF 00000600
	v_mfma_f32_16x16x32_fp8_fp8 v[104:107], a[152:153], a[32:33], v[104:107]// 00000000421C: D3F30068 1DA24198
	v_mfma_f32_16x16x32_fp8_fp8 v[104:107], a[154:155], a[34:35], v[104:107]// 000000004224: D3F30068 1DA2459A
	buffer_load_dword v72, s[20:23], 0 offen lds               // 00000000422C: E0511000 80050048
	s_add_u32 m0, 0x700, s49                                   // 000000004234: 807C31FF 00000700
	v_mfma_f32_16x16x32_fp8_fp8 v[104:107], a[156:157], a[36:37], v[104:107]// 00000000423C: D3F30068 1DA2499C
	v_mfma_f32_16x16x32_fp8_fp8 v[104:107], a[158:159], a[38:39], v[104:107]// 000000004244: D3F30068 1DA24D9E
	buffer_load_dword v73, s[20:23], 0 offen lds               // 00000000424C: E0511000 80050049
	s_add_u32 m0, 0x800, s49                                   // 000000004254: 807C31FF 00000800
	v_mfma_f32_16x16x32_fp8_fp8 v[108:111], a[152:153], a[40:41], v[108:111]// 00000000425C: D3F3006C 1DB25198
	v_mfma_f32_16x16x32_fp8_fp8 v[108:111], a[154:155], a[42:43], v[108:111]// 000000004264: D3F3006C 1DB2559A
	buffer_load_dword v74, s[20:23], 0 offen lds               // 00000000426C: E0511000 8005004A
	s_add_u32 m0, 0x900, s49                                   // 000000004274: 807C31FF 00000900
	v_mfma_f32_16x16x32_fp8_fp8 v[108:111], a[156:157], a[44:45], v[108:111]// 00000000427C: D3F3006C 1DB2599C
	v_mfma_f32_16x16x32_fp8_fp8 v[108:111], a[158:159], a[46:47], v[108:111]// 000000004284: D3F3006C 1DB25D9E
	buffer_load_dword v75, s[20:23], 0 offen lds               // 00000000428C: E0511000 8005004B
	s_add_u32 m0, 0xa00, s49                                   // 000000004294: 807C31FF 00000A00
	v_mfma_f32_16x16x32_fp8_fp8 v[112:115], a[152:153], a[48:49], v[112:115]// 00000000429C: D3F30070 1DC26198
	v_mfma_f32_16x16x32_fp8_fp8 v[112:115], a[154:155], a[50:51], v[112:115]// 0000000042A4: D3F30070 1DC2659A
	buffer_load_dword v76, s[20:23], 0 offen lds               // 0000000042AC: E0511000 8005004C
	s_add_u32 m0, 0xb00, s49                                   // 0000000042B4: 807C31FF 00000B00
	v_mfma_f32_16x16x32_fp8_fp8 v[112:115], a[156:157], a[52:53], v[112:115]// 0000000042BC: D3F30070 1DC2699C
	v_mfma_f32_16x16x32_fp8_fp8 v[112:115], a[158:159], a[54:55], v[112:115]// 0000000042C4: D3F30070 1DC26D9E
	buffer_load_dword v77, s[20:23], 0 offen lds               // 0000000042CC: E0511000 8005004D
	s_add_u32 m0, 0xc00, s49                                   // 0000000042D4: 807C31FF 00000C00
	v_mfma_f32_16x16x32_fp8_fp8 v[116:119], a[152:153], a[56:57], v[116:119]// 0000000042DC: D3F30074 1DD27198
	v_mfma_f32_16x16x32_fp8_fp8 v[116:119], a[154:155], a[58:59], v[116:119]// 0000000042E4: D3F30074 1DD2759A
	buffer_load_dword v78, s[20:23], 0 offen lds               // 0000000042EC: E0511000 8005004E
	s_add_u32 m0, 0xd00, s49                                   // 0000000042F4: 807C31FF 00000D00
	v_mfma_f32_16x16x32_fp8_fp8 v[116:119], a[156:157], a[60:61], v[116:119]// 0000000042FC: D3F30074 1DD2799C
	v_mfma_f32_16x16x32_fp8_fp8 v[116:119], a[158:159], a[62:63], v[116:119]// 000000004304: D3F30074 1DD27D9E
	buffer_load_dword v79, s[20:23], 0 offen lds               // 00000000430C: E0511000 8005004F
	s_add_u32 m0, 0xe00, s49                                   // 000000004314: 807C31FF 00000E00
	v_mfma_f32_16x16x32_fp8_fp8 v[120:123], a[152:153], a[64:65], v[120:123]// 00000000431C: D3F30078 1DE28198
	v_mfma_f32_16x16x32_fp8_fp8 v[120:123], a[154:155], a[66:67], v[120:123]// 000000004324: D3F30078 1DE2859A
	buffer_load_dword v80, s[20:23], 0 offen lds               // 00000000432C: E0511000 80050050
	s_add_u32 m0, 0xf00, s49                                   // 000000004334: 807C31FF 00000F00
	v_mfma_f32_16x16x32_fp8_fp8 v[120:123], a[156:157], a[68:69], v[120:123]// 00000000433C: D3F30078 1DE2899C
	v_mfma_f32_16x16x32_fp8_fp8 v[120:123], a[158:159], a[70:71], v[120:123]// 000000004344: D3F30078 1DE28D9E
	buffer_load_dword v81, s[20:23], 0 offen lds               // 00000000434C: E0511000 80050051
	s_add_u32 m0, 0x1000, s49                                  // 000000004354: 807C31FF 00001000
	buffer_load_dword v82, s[20:23], 0 offen lds               // 00000000435C: E0511000 80050052
	s_add_u32 m0, 0x1100, s49                                  // 000000004364: 807C31FF 00001100
	buffer_load_dword v83, s[20:23], 0 offen lds               // 00000000436C: E0511000 80050053
	s_add_u32 m0, 0, s50                                       // 000000004374: 807C3280
	s_waitcnt vmcnt(20)                                        // 000000004378: BF8C4F74
	s_barrier                                                  // 00000000437C: BF8A0000
	v_mfma_f32_16x16x32_fp8_fp8 v[124:127], a[160:161], a[0:1], v[124:127]// 000000004380: D3F3007C 1DF201A0
	v_mfma_f32_16x16x32_fp8_fp8 v[124:127], a[162:163], a[2:3], v[124:127]// 000000004388: D3F3007C 1DF205A2
	buffer_load_dwordx4 a[152:155], v84, s[84:87], 0 offen     // 000000004390: E05C1000 80959854
	v_mfma_f32_16x16x32_fp8_fp8 v[124:127], a[164:165], a[4:5], v[124:127]// 000000004398: D3F3007C 1DF209A4
	v_mfma_f32_16x16x32_fp8_fp8 v[124:127], a[166:167], a[6:7], v[124:127]// 0000000043A0: D3F3007C 1DF20DA6
	ds_read_b128 a[72:75], v2                                  // 0000000043A8: DBFE0000 48000002
	ds_read_b128 a[76:79], v2 offset:64                        // 0000000043B0: DBFE0040 4C000002
	v_mfma_f32_16x16x32_fp8_fp8 v[128:131], a[160:161], a[8:9], v[128:131]// 0000000043B8: D3F30080 1E0211A0
	v_mfma_f32_16x16x32_fp8_fp8 v[128:131], a[162:163], a[10:11], v[128:131]// 0000000043C0: D3F30080 1E0215A2
	buffer_load_dwordx4 a[156:159], v84, s[84:87], 0 offen offset:1024// 0000000043C8: E05C1400 80959C54
	v_mfma_f32_16x16x32_fp8_fp8 v[128:131], a[164:165], a[12:13], v[128:131]// 0000000043D0: D3F30080 1E0219A4
	v_mfma_f32_16x16x32_fp8_fp8 v[128:131], a[166:167], a[14:15], v[128:131]// 0000000043D8: D3F30080 1E021DA6
	ds_read_b128 a[80:83], v2 offset:512                       // 0000000043E0: DBFE0200 50000002
	ds_read_b128 a[84:87], v2 offset:576                       // 0000000043E8: DBFE0240 54000002
	v_mfma_f32_16x16x32_fp8_fp8 v[132:135], a[160:161], a[16:17], v[132:135]// 0000000043F0: D3F30084 1E1221A0
	v_mfma_f32_16x16x32_fp8_fp8 v[132:135], a[162:163], a[18:19], v[132:135]// 0000000043F8: D3F30084 1E1225A2
	v_mfma_f32_16x16x32_fp8_fp8 v[132:135], a[164:165], a[20:21], v[132:135]// 000000004400: D3F30084 1E1229A4
	v_mfma_f32_16x16x32_fp8_fp8 v[132:135], a[166:167], a[22:23], v[132:135]// 000000004408: D3F30084 1E122DA6
	ds_read_b128 a[88:91], v2 offset:1024                      // 000000004410: DBFE0400 58000002
	ds_read_b128 a[92:95], v2 offset:1088                      // 000000004418: DBFE0440 5C000002
	v_mfma_f32_16x16x32_fp8_fp8 v[136:139], a[160:161], a[24:25], v[136:139]// 000000004420: D3F30088 1E2231A0
	v_mfma_f32_16x16x32_fp8_fp8 v[136:139], a[162:163], a[26:27], v[136:139]// 000000004428: D3F30088 1E2235A2
	v_mfma_f32_16x16x32_fp8_fp8 v[136:139], a[164:165], a[28:29], v[136:139]// 000000004430: D3F30088 1E2239A4
	v_mfma_f32_16x16x32_fp8_fp8 v[136:139], a[166:167], a[30:31], v[136:139]// 000000004438: D3F30088 1E223DA6
	ds_read_b128 a[96:99], v2 offset:1536                      // 000000004440: DBFE0600 60000002
	ds_read_b128 a[100:103], v2 offset:1600                    // 000000004448: DBFE0640 64000002
	v_mfma_f32_16x16x32_fp8_fp8 v[140:143], a[160:161], a[32:33], v[140:143]// 000000004450: D3F3008C 1E3241A0
	v_mfma_f32_16x16x32_fp8_fp8 v[140:143], a[162:163], a[34:35], v[140:143]// 000000004458: D3F3008C 1E3245A2
	v_mfma_f32_16x16x32_fp8_fp8 v[140:143], a[164:165], a[36:37], v[140:143]// 000000004460: D3F3008C 1E3249A4
	v_mfma_f32_16x16x32_fp8_fp8 v[140:143], a[166:167], a[38:39], v[140:143]// 000000004468: D3F3008C 1E324DA6
	ds_read_b128 a[104:107], v2 offset:2048                    // 000000004470: DBFE0800 68000002
	ds_read_b128 a[108:111], v2 offset:2112                    // 000000004478: DBFE0840 6C000002
	v_mfma_f32_16x16x32_fp8_fp8 v[144:147], a[160:161], a[40:41], v[144:147]// 000000004480: D3F30090 1E4251A0
	v_mfma_f32_16x16x32_fp8_fp8 v[144:147], a[162:163], a[42:43], v[144:147]// 000000004488: D3F30090 1E4255A2
	v_mfma_f32_16x16x32_fp8_fp8 v[144:147], a[164:165], a[44:45], v[144:147]// 000000004490: D3F30090 1E4259A4
	v_mfma_f32_16x16x32_fp8_fp8 v[144:147], a[166:167], a[46:47], v[144:147]// 000000004498: D3F30090 1E425DA6
	ds_read_b128 a[112:115], v2 offset:2560                    // 0000000044A0: DBFE0A00 70000002
	ds_read_b128 a[116:119], v2 offset:2624                    // 0000000044A8: DBFE0A40 74000002
	v_mfma_f32_16x16x32_fp8_fp8 v[148:151], a[160:161], a[48:49], v[148:151]// 0000000044B0: D3F30094 1E5261A0
	v_mfma_f32_16x16x32_fp8_fp8 v[148:151], a[162:163], a[50:51], v[148:151]// 0000000044B8: D3F30094 1E5265A2
	v_mfma_f32_16x16x32_fp8_fp8 v[148:151], a[164:165], a[52:53], v[148:151]// 0000000044C0: D3F30094 1E5269A4
	v_mfma_f32_16x16x32_fp8_fp8 v[148:151], a[166:167], a[54:55], v[148:151]// 0000000044C8: D3F30094 1E526DA6
	ds_read_b128 a[120:123], v2 offset:3072                    // 0000000044D0: DBFE0C00 78000002
	ds_read_b128 a[124:127], v2 offset:3136                    // 0000000044D8: DBFE0C40 7C000002
	v_mfma_f32_16x16x32_fp8_fp8 v[152:155], a[160:161], a[56:57], v[152:155]// 0000000044E0: D3F30098 1E6271A0
	s_add_u32 s60, 0x180, s80                                  // 0000000044E8: 803C50FF 00000180
	s_cmp_lt_u32 s60, s81                                      // 0000000044F0: BF0A513C
	s_cselect_b32 s57, s57, 0                                  // 0000000044F4: 85398039
	v_mfma_f32_16x16x32_fp8_fp8 v[152:155], a[162:163], a[58:59], v[152:155]// 0000000044F8: D3F30098 1E6275A2
	s_add_u32 s60, 0x100, s80                                  // 000000004500: 803C50FF 00000100
	s_cmp_lt_u32 s60, s81                                      // 000000004508: BF0A513C
	s_cselect_b32 s58, s58, 0                                  // 00000000450C: 853A803A
	v_mfma_f32_16x16x32_fp8_fp8 v[152:155], a[164:165], a[60:61], v[152:155]// 000000004510: D3F30098 1E6279A4
	s_add_u32 s60, 0x100, s80                                  // 000000004518: 803C50FF 00000100
	s_cmp_lt_u32 s60, s81                                      // 000000004520: BF0A513C
	s_cselect_b32 s83, s83, 0                                  // 000000004524: 85538053
	v_mfma_f32_16x16x32_fp8_fp8 v[152:155], a[166:167], a[62:63], v[152:155]// 000000004528: D3F30098 1E627DA6
	ds_read_b128 a[128:131], v2 offset:3584                    // 000000004530: DBFE0E00 80000002
	ds_read_b128 a[132:135], v2 offset:3648                    // 000000004538: DBFE0E40 84000002
	s_add_u32 s24, s58, s24                                    // 000000004540: 8018183A
	s_addc_u32 s25, 0, s25                                     // 000000004544: 82191980
	v_mfma_f32_16x16x32_fp8_fp8 v[156:159], a[160:161], a[64:65], v[156:159]// 000000004548: D3F3009C 1E7281A0
	s_add_u32 s20, s57, s20                                    // 000000004550: 80141439
	s_addc_u32 s21, 0, s21                                     // 000000004554: 82151580
	v_mfma_f32_16x16x32_fp8_fp8 v[156:159], a[162:163], a[66:67], v[156:159]// 000000004558: D3F3009C 1E7285A2
	s_add_u32 s84, s83, s84                                    // 000000004560: 80545453
	s_addc_u32 s85, 0, s85                                     // 000000004564: 82555580
	v_mfma_f32_16x16x32_fp8_fp8 v[156:159], a[164:165], a[68:69], v[156:159]// 000000004568: D3F3009C 1E7289A4
	v_mfma_f32_16x16x32_fp8_fp8 v[156:159], a[166:167], a[70:71], v[156:159]// 000000004570: D3F3009C 1E728DA6
	ds_read_b128 a[136:139], v2 offset:4096                    // 000000004578: DBFE1000 88000002
	ds_read_b128 a[140:143], v2 offset:4160                    // 000000004580: DBFE1040 8C000002
	s_addk_i32 s80, 0x80                                       // 000000004588: B7500080
	s_cmp_lt_i32 s80, s81                                      // 00000000458C: BF045150
	s_cbranch_scc0 label_0A37                                  // 000000004590: BF840352
	s_waitcnt vmcnt(20) lgkmcnt(0)                             // 000000004594: BF8C4074
	v_mfma_f32_16x16x32_fp8_fp8 v[88:91], a[144:145], a[72:73], v[88:91]// 000000004598: D3F30058 1D629190
	v_mfma_f32_16x16x32_fp8_fp8 v[88:91], a[146:147], a[74:75], v[88:91]// 0000000045A0: D3F30058 1D629592
	buffer_load_dwordx4 a[160:163], v84, s[24:27], 0 offen     // 0000000045A8: E05C1000 8086A054
	v_mfma_f32_16x16x32_fp8_fp8 v[88:91], a[148:149], a[76:77], v[88:91]// 0000000045B0: D3F30058 1D629994
	v_mfma_f32_16x16x32_fp8_fp8 v[88:91], a[150:151], a[78:79], v[88:91]// 0000000045B8: D3F30058 1D629D96
	v_mfma_f32_16x16x32_fp8_fp8 v[92:95], a[144:145], a[80:81], v[92:95]// 0000000045C0: D3F3005C 1D72A190
	v_mfma_f32_16x16x32_fp8_fp8 v[92:95], a[146:147], a[82:83], v[92:95]// 0000000045C8: D3F3005C 1D72A592
	buffer_load_dwordx4 a[164:167], v84, s[24:27], 0 offen offset:1024// 0000000045D0: E05C1400 8086A454
	buffer_load_dword v66, s[20:23], 0 offen lds               // 0000000045D8: E0511000 80050042
	s_add_u32 m0, 0x100, s50                                   // 0000000045E0: 807C32FF 00000100
	v_mfma_f32_16x16x32_fp8_fp8 v[92:95], a[148:149], a[84:85], v[92:95]// 0000000045E8: D3F3005C 1D72A994
	v_mfma_f32_16x16x32_fp8_fp8 v[92:95], a[150:151], a[86:87], v[92:95]// 0000000045F0: D3F3005C 1D72AD96
	buffer_load_dword v67, s[20:23], 0 offen lds               // 0000000045F8: E0511000 80050043
	s_add_u32 m0, 0x200, s50                                   // 000000004600: 807C32FF 00000200
	v_mfma_f32_16x16x32_fp8_fp8 v[96:99], a[144:145], a[88:89], v[96:99]// 000000004608: D3F30060 1D82B190
	v_mfma_f32_16x16x32_fp8_fp8 v[96:99], a[146:147], a[90:91], v[96:99]// 000000004610: D3F30060 1D82B592
	buffer_load_dword v68, s[20:23], 0 offen lds               // 000000004618: E0511000 80050044
	s_add_u32 m0, 0x300, s50                                   // 000000004620: 807C32FF 00000300
	v_mfma_f32_16x16x32_fp8_fp8 v[96:99], a[148:149], a[92:93], v[96:99]// 000000004628: D3F30060 1D82B994
	v_mfma_f32_16x16x32_fp8_fp8 v[96:99], a[150:151], a[94:95], v[96:99]// 000000004630: D3F30060 1D82BD96
	buffer_load_dword v69, s[20:23], 0 offen lds               // 000000004638: E0511000 80050045
	s_add_u32 m0, 0x400, s50                                   // 000000004640: 807C32FF 00000400
	v_mfma_f32_16x16x32_fp8_fp8 v[100:103], a[144:145], a[96:97], v[100:103]// 000000004648: D3F30064 1D92C190
	v_mfma_f32_16x16x32_fp8_fp8 v[100:103], a[146:147], a[98:99], v[100:103]// 000000004650: D3F30064 1D92C592
	buffer_load_dword v70, s[20:23], 0 offen lds               // 000000004658: E0511000 80050046
	s_add_u32 m0, 0x500, s50                                   // 000000004660: 807C32FF 00000500
	v_mfma_f32_16x16x32_fp8_fp8 v[100:103], a[148:149], a[100:101], v[100:103]// 000000004668: D3F30064 1D92C994
	v_mfma_f32_16x16x32_fp8_fp8 v[100:103], a[150:151], a[102:103], v[100:103]// 000000004670: D3F30064 1D92CD96
	buffer_load_dword v71, s[20:23], 0 offen lds               // 000000004678: E0511000 80050047
	s_add_u32 m0, 0x600, s50                                   // 000000004680: 807C32FF 00000600
	v_mfma_f32_16x16x32_fp8_fp8 v[104:107], a[144:145], a[104:105], v[104:107]// 000000004688: D3F30068 1DA2D190
	v_mfma_f32_16x16x32_fp8_fp8 v[104:107], a[146:147], a[106:107], v[104:107]// 000000004690: D3F30068 1DA2D592
	buffer_load_dword v72, s[20:23], 0 offen lds               // 000000004698: E0511000 80050048
	s_add_u32 m0, 0x700, s50                                   // 0000000046A0: 807C32FF 00000700
	v_mfma_f32_16x16x32_fp8_fp8 v[104:107], a[148:149], a[108:109], v[104:107]// 0000000046A8: D3F30068 1DA2D994
	v_mfma_f32_16x16x32_fp8_fp8 v[104:107], a[150:151], a[110:111], v[104:107]// 0000000046B0: D3F30068 1DA2DD96
	buffer_load_dword v73, s[20:23], 0 offen lds               // 0000000046B8: E0511000 80050049
	s_add_u32 m0, 0x800, s50                                   // 0000000046C0: 807C32FF 00000800
	v_mfma_f32_16x16x32_fp8_fp8 v[108:111], a[144:145], a[112:113], v[108:111]// 0000000046C8: D3F3006C 1DB2E190
	v_mfma_f32_16x16x32_fp8_fp8 v[108:111], a[146:147], a[114:115], v[108:111]// 0000000046D0: D3F3006C 1DB2E592
	buffer_load_dword v74, s[20:23], 0 offen lds               // 0000000046D8: E0511000 8005004A
	s_add_u32 m0, 0x900, s50                                   // 0000000046E0: 807C32FF 00000900
	v_mfma_f32_16x16x32_fp8_fp8 v[108:111], a[148:149], a[116:117], v[108:111]// 0000000046E8: D3F3006C 1DB2E994
	v_mfma_f32_16x16x32_fp8_fp8 v[108:111], a[150:151], a[118:119], v[108:111]// 0000000046F0: D3F3006C 1DB2ED96
	buffer_load_dword v75, s[20:23], 0 offen lds               // 0000000046F8: E0511000 8005004B
	s_add_u32 m0, 0xa00, s50                                   // 000000004700: 807C32FF 00000A00
	v_mfma_f32_16x16x32_fp8_fp8 v[112:115], a[144:145], a[120:121], v[112:115]// 000000004708: D3F30070 1DC2F190
	v_mfma_f32_16x16x32_fp8_fp8 v[112:115], a[146:147], a[122:123], v[112:115]// 000000004710: D3F30070 1DC2F592
	buffer_load_dword v76, s[20:23], 0 offen lds               // 000000004718: E0511000 8005004C
	s_add_u32 m0, 0xb00, s50                                   // 000000004720: 807C32FF 00000B00
	v_mfma_f32_16x16x32_fp8_fp8 v[112:115], a[148:149], a[124:125], v[112:115]// 000000004728: D3F30070 1DC2F994
	v_mfma_f32_16x16x32_fp8_fp8 v[112:115], a[150:151], a[126:127], v[112:115]// 000000004730: D3F30070 1DC2FD96
	buffer_load_dword v77, s[20:23], 0 offen lds               // 000000004738: E0511000 8005004D
	s_add_u32 m0, 0xc00, s50                                   // 000000004740: 807C32FF 00000C00
	v_mfma_f32_16x16x32_fp8_fp8 v[116:119], a[144:145], a[128:129], v[116:119]// 000000004748: D3F30074 1DD30190
	v_mfma_f32_16x16x32_fp8_fp8 v[116:119], a[146:147], a[130:131], v[116:119]// 000000004750: D3F30074 1DD30592
	buffer_load_dword v78, s[20:23], 0 offen lds               // 000000004758: E0511000 8005004E
	s_add_u32 m0, 0xd00, s50                                   // 000000004760: 807C32FF 00000D00
	v_mfma_f32_16x16x32_fp8_fp8 v[116:119], a[148:149], a[132:133], v[116:119]// 000000004768: D3F30074 1DD30994
	v_mfma_f32_16x16x32_fp8_fp8 v[116:119], a[150:151], a[134:135], v[116:119]// 000000004770: D3F30074 1DD30D96
	buffer_load_dword v79, s[20:23], 0 offen lds               // 000000004778: E0511000 8005004F
	s_add_u32 m0, 0xe00, s50                                   // 000000004780: 807C32FF 00000E00
	v_mfma_f32_16x16x32_fp8_fp8 v[120:123], a[144:145], a[136:137], v[120:123]// 000000004788: D3F30078 1DE31190
	v_mfma_f32_16x16x32_fp8_fp8 v[120:123], a[146:147], a[138:139], v[120:123]// 000000004790: D3F30078 1DE31592
	buffer_load_dword v80, s[20:23], 0 offen lds               // 000000004798: E0511000 80050050
	s_add_u32 m0, 0xf00, s50                                   // 0000000047A0: 807C32FF 00000F00
	v_mfma_f32_16x16x32_fp8_fp8 v[120:123], a[148:149], a[140:141], v[120:123]// 0000000047A8: D3F30078 1DE31994
	v_mfma_f32_16x16x32_fp8_fp8 v[120:123], a[150:151], a[142:143], v[120:123]// 0000000047B0: D3F30078 1DE31D96
	buffer_load_dword v81, s[20:23], 0 offen lds               // 0000000047B8: E0511000 80050051
	s_add_u32 m0, 0x1000, s50                                  // 0000000047C0: 807C32FF 00001000
	buffer_load_dword v82, s[20:23], 0 offen lds               // 0000000047C8: E0511000 80050052
	s_add_u32 m0, 0x1100, s50                                  // 0000000047D0: 807C32FF 00001100
	buffer_load_dword v83, s[20:23], 0 offen lds               // 0000000047D8: E0511000 80050053
	s_add_u32 m0, 0, s48                                       // 0000000047E0: 807C3080
	s_waitcnt vmcnt(20)                                        // 0000000047E4: BF8C4F74
	s_barrier                                                  // 0000000047E8: BF8A0000
	v_mfma_f32_16x16x32_fp8_fp8 v[124:127], a[152:153], a[72:73], v[124:127]// 0000000047EC: D3F3007C 1DF29198
	v_mfma_f32_16x16x32_fp8_fp8 v[124:127], a[154:155], a[74:75], v[124:127]// 0000000047F4: D3F3007C 1DF2959A
	buffer_load_dwordx4 a[144:147], v84, s[84:87], 0 offen     // 0000000047FC: E05C1000 80959054
	v_mfma_f32_16x16x32_fp8_fp8 v[124:127], a[156:157], a[76:77], v[124:127]// 000000004804: D3F3007C 1DF2999C
	v_mfma_f32_16x16x32_fp8_fp8 v[124:127], a[158:159], a[78:79], v[124:127]// 00000000480C: D3F3007C 1DF29D9E
	ds_read_b128 a[0:3], v2 offset:18560                       // 000000004814: DBFE4880 00000002
	ds_read_b128 a[4:7], v2 offset:18624                       // 00000000481C: DBFE48C0 04000002
	v_mfma_f32_16x16x32_fp8_fp8 v[128:131], a[152:153], a[80:81], v[128:131]// 000000004824: D3F30080 1E02A198
	v_mfma_f32_16x16x32_fp8_fp8 v[128:131], a[154:155], a[82:83], v[128:131]// 00000000482C: D3F30080 1E02A59A
	buffer_load_dwordx4 a[148:151], v84, s[84:87], 0 offen offset:1024// 000000004834: E05C1400 80959454
	v_mfma_f32_16x16x32_fp8_fp8 v[128:131], a[156:157], a[84:85], v[128:131]// 00000000483C: D3F30080 1E02A99C
	v_mfma_f32_16x16x32_fp8_fp8 v[128:131], a[158:159], a[86:87], v[128:131]// 000000004844: D3F30080 1E02AD9E
	ds_read_b128 a[8:11], v2 offset:19072                      // 00000000484C: DBFE4A80 08000002
	ds_read_b128 a[12:15], v2 offset:19136                     // 000000004854: DBFE4AC0 0C000002
	v_mfma_f32_16x16x32_fp8_fp8 v[132:135], a[152:153], a[88:89], v[132:135]// 00000000485C: D3F30084 1E12B198
	v_mfma_f32_16x16x32_fp8_fp8 v[132:135], a[154:155], a[90:91], v[132:135]// 000000004864: D3F30084 1E12B59A
	v_mfma_f32_16x16x32_fp8_fp8 v[132:135], a[156:157], a[92:93], v[132:135]// 00000000486C: D3F30084 1E12B99C
	v_mfma_f32_16x16x32_fp8_fp8 v[132:135], a[158:159], a[94:95], v[132:135]// 000000004874: D3F30084 1E12BD9E
	ds_read_b128 a[16:19], v2 offset:19584                     // 00000000487C: DBFE4C80 10000002
	ds_read_b128 a[20:23], v2 offset:19648                     // 000000004884: DBFE4CC0 14000002
	v_mfma_f32_16x16x32_fp8_fp8 v[136:139], a[152:153], a[96:97], v[136:139]// 00000000488C: D3F30088 1E22C198
	v_mfma_f32_16x16x32_fp8_fp8 v[136:139], a[154:155], a[98:99], v[136:139]// 000000004894: D3F30088 1E22C59A
	v_mfma_f32_16x16x32_fp8_fp8 v[136:139], a[156:157], a[100:101], v[136:139]// 00000000489C: D3F30088 1E22C99C
	v_mfma_f32_16x16x32_fp8_fp8 v[136:139], a[158:159], a[102:103], v[136:139]// 0000000048A4: D3F30088 1E22CD9E
	ds_read_b128 a[24:27], v2 offset:20096                     // 0000000048AC: DBFE4E80 18000002
	ds_read_b128 a[28:31], v2 offset:20160                     // 0000000048B4: DBFE4EC0 1C000002
	v_mfma_f32_16x16x32_fp8_fp8 v[140:143], a[152:153], a[104:105], v[140:143]// 0000000048BC: D3F3008C 1E32D198
	v_mfma_f32_16x16x32_fp8_fp8 v[140:143], a[154:155], a[106:107], v[140:143]// 0000000048C4: D3F3008C 1E32D59A
	v_mfma_f32_16x16x32_fp8_fp8 v[140:143], a[156:157], a[108:109], v[140:143]// 0000000048CC: D3F3008C 1E32D99C
	v_mfma_f32_16x16x32_fp8_fp8 v[140:143], a[158:159], a[110:111], v[140:143]// 0000000048D4: D3F3008C 1E32DD9E
	ds_read_b128 a[32:35], v2 offset:20608                     // 0000000048DC: DBFE5080 20000002
	ds_read_b128 a[36:39], v2 offset:20672                     // 0000000048E4: DBFE50C0 24000002
	v_mfma_f32_16x16x32_fp8_fp8 v[144:147], a[152:153], a[112:113], v[144:147]// 0000000048EC: D3F30090 1E42E198
	v_mfma_f32_16x16x32_fp8_fp8 v[144:147], a[154:155], a[114:115], v[144:147]// 0000000048F4: D3F30090 1E42E59A
	v_mfma_f32_16x16x32_fp8_fp8 v[144:147], a[156:157], a[116:117], v[144:147]// 0000000048FC: D3F30090 1E42E99C
	v_mfma_f32_16x16x32_fp8_fp8 v[144:147], a[158:159], a[118:119], v[144:147]// 000000004904: D3F30090 1E42ED9E
	ds_read_b128 a[40:43], v2 offset:21120                     // 00000000490C: DBFE5280 28000002
	ds_read_b128 a[44:47], v2 offset:21184                     // 000000004914: DBFE52C0 2C000002
	v_mfma_f32_16x16x32_fp8_fp8 v[148:151], a[152:153], a[120:121], v[148:151]// 00000000491C: D3F30094 1E52F198
	v_mfma_f32_16x16x32_fp8_fp8 v[148:151], a[154:155], a[122:123], v[148:151]// 000000004924: D3F30094 1E52F59A
	v_mfma_f32_16x16x32_fp8_fp8 v[148:151], a[156:157], a[124:125], v[148:151]// 00000000492C: D3F30094 1E52F99C
	v_mfma_f32_16x16x32_fp8_fp8 v[148:151], a[158:159], a[126:127], v[148:151]// 000000004934: D3F30094 1E52FD9E
	ds_read_b128 a[48:51], v2 offset:21632                     // 00000000493C: DBFE5480 30000002
	ds_read_b128 a[52:55], v2 offset:21696                     // 000000004944: DBFE54C0 34000002
	v_mfma_f32_16x16x32_fp8_fp8 v[152:155], a[152:153], a[128:129], v[152:155]// 00000000494C: D3F30098 1E630198
	s_add_u32 s60, 0x180, s80                                  // 000000004954: 803C50FF 00000180
	s_cmp_lt_u32 s60, s81                                      // 00000000495C: BF0A513C
	s_cselect_b32 s57, s57, 0                                  // 000000004960: 85398039
	v_mfma_f32_16x16x32_fp8_fp8 v[152:155], a[154:155], a[130:131], v[152:155]// 000000004964: D3F30098 1E63059A
	s_add_u32 s60, 0x100, s80                                  // 00000000496C: 803C50FF 00000100
	s_cmp_lt_u32 s60, s81                                      // 000000004974: BF0A513C
	s_cselect_b32 s58, s58, 0                                  // 000000004978: 853A803A
	v_mfma_f32_16x16x32_fp8_fp8 v[152:155], a[156:157], a[132:133], v[152:155]// 00000000497C: D3F30098 1E63099C
	s_add_u32 s60, 0x100, s80                                  // 000000004984: 803C50FF 00000100
	s_cmp_lt_u32 s60, s81                                      // 00000000498C: BF0A513C
	s_cselect_b32 s83, s83, 0                                  // 000000004990: 85538053
	v_mfma_f32_16x16x32_fp8_fp8 v[152:155], a[158:159], a[134:135], v[152:155]// 000000004994: D3F30098 1E630D9E
	ds_read_b128 a[56:59], v2 offset:22144                     // 00000000499C: DBFE5680 38000002
	ds_read_b128 a[60:63], v2 offset:22208                     // 0000000049A4: DBFE56C0 3C000002
	s_add_u32 s24, s58, s24                                    // 0000000049AC: 8018183A
	s_addc_u32 s25, 0, s25                                     // 0000000049B0: 82191980
	v_mfma_f32_16x16x32_fp8_fp8 v[156:159], a[152:153], a[136:137], v[156:159]// 0000000049B4: D3F3009C 1E731198
	s_add_u32 s20, s57, s20                                    // 0000000049BC: 80141439
	s_addc_u32 s21, 0, s21                                     // 0000000049C0: 82151580
	v_mfma_f32_16x16x32_fp8_fp8 v[156:159], a[154:155], a[138:139], v[156:159]// 0000000049C4: D3F3009C 1E73159A
	s_add_u32 s84, s83, s84                                    // 0000000049CC: 80545453
	s_addc_u32 s85, 0, s85                                     // 0000000049D0: 82555580
	v_mfma_f32_16x16x32_fp8_fp8 v[156:159], a[156:157], a[140:141], v[156:159]// 0000000049D4: D3F3009C 1E73199C
	v_mfma_f32_16x16x32_fp8_fp8 v[156:159], a[158:159], a[142:143], v[156:159]// 0000000049DC: D3F3009C 1E731D9E
	ds_read_b128 a[64:67], v2 offset:22656                     // 0000000049E4: DBFE5880 40000002
	ds_read_b128 a[68:71], v2 offset:22720                     // 0000000049EC: DBFE58C0 44000002
	s_addk_i32 s80, 0x80                                       // 0000000049F4: B7500080
	s_cmp_lt_i32 s80, s81                                      // 0000000049F8: BF045150
	s_cbranch_scc0 label_0A37                                  // 0000000049FC: BF840237
	s_waitcnt vmcnt(20) lgkmcnt(0)                             // 000000004A00: BF8C4074
	v_mfma_f32_16x16x32_fp8_fp8 v[88:91], a[160:161], a[0:1], v[88:91]// 000000004A04: D3F30058 1D6201A0
	v_mfma_f32_16x16x32_fp8_fp8 v[88:91], a[162:163], a[2:3], v[88:91]// 000000004A0C: D3F30058 1D6205A2
	buffer_load_dwordx4 a[152:155], v84, s[24:27], 0 offen     // 000000004A14: E05C1000 80869854
	v_mfma_f32_16x16x32_fp8_fp8 v[88:91], a[164:165], a[4:5], v[88:91]// 000000004A1C: D3F30058 1D6209A4
	v_mfma_f32_16x16x32_fp8_fp8 v[88:91], a[166:167], a[6:7], v[88:91]// 000000004A24: D3F30058 1D620DA6
	v_mfma_f32_16x16x32_fp8_fp8 v[92:95], a[160:161], a[8:9], v[92:95]// 000000004A2C: D3F3005C 1D7211A0
	v_mfma_f32_16x16x32_fp8_fp8 v[92:95], a[162:163], a[10:11], v[92:95]// 000000004A34: D3F3005C 1D7215A2
	buffer_load_dwordx4 a[156:159], v84, s[24:27], 0 offen offset:1024// 000000004A3C: E05C1400 80869C54
	buffer_load_dword v66, s[20:23], 0 offen lds               // 000000004A44: E0511000 80050042
	s_add_u32 m0, 0x100, s48                                   // 000000004A4C: 807C30FF 00000100
	v_mfma_f32_16x16x32_fp8_fp8 v[92:95], a[164:165], a[12:13], v[92:95]// 000000004A54: D3F3005C 1D7219A4
	v_mfma_f32_16x16x32_fp8_fp8 v[92:95], a[166:167], a[14:15], v[92:95]// 000000004A5C: D3F3005C 1D721DA6
	buffer_load_dword v67, s[20:23], 0 offen lds               // 000000004A64: E0511000 80050043
	s_add_u32 m0, 0x200, s48                                   // 000000004A6C: 807C30FF 00000200
	v_mfma_f32_16x16x32_fp8_fp8 v[96:99], a[160:161], a[16:17], v[96:99]// 000000004A74: D3F30060 1D8221A0
	v_mfma_f32_16x16x32_fp8_fp8 v[96:99], a[162:163], a[18:19], v[96:99]// 000000004A7C: D3F30060 1D8225A2
	buffer_load_dword v68, s[20:23], 0 offen lds               // 000000004A84: E0511000 80050044
	s_add_u32 m0, 0x300, s48                                   // 000000004A8C: 807C30FF 00000300
	v_mfma_f32_16x16x32_fp8_fp8 v[96:99], a[164:165], a[20:21], v[96:99]// 000000004A94: D3F30060 1D8229A4
	v_mfma_f32_16x16x32_fp8_fp8 v[96:99], a[166:167], a[22:23], v[96:99]// 000000004A9C: D3F30060 1D822DA6
	buffer_load_dword v69, s[20:23], 0 offen lds               // 000000004AA4: E0511000 80050045
	s_add_u32 m0, 0x400, s48                                   // 000000004AAC: 807C30FF 00000400
	v_mfma_f32_16x16x32_fp8_fp8 v[100:103], a[160:161], a[24:25], v[100:103]// 000000004AB4: D3F30064 1D9231A0
	v_mfma_f32_16x16x32_fp8_fp8 v[100:103], a[162:163], a[26:27], v[100:103]// 000000004ABC: D3F30064 1D9235A2
	buffer_load_dword v70, s[20:23], 0 offen lds               // 000000004AC4: E0511000 80050046
	s_add_u32 m0, 0x500, s48                                   // 000000004ACC: 807C30FF 00000500
	v_mfma_f32_16x16x32_fp8_fp8 v[100:103], a[164:165], a[28:29], v[100:103]// 000000004AD4: D3F30064 1D9239A4
	v_mfma_f32_16x16x32_fp8_fp8 v[100:103], a[166:167], a[30:31], v[100:103]// 000000004ADC: D3F30064 1D923DA6
	buffer_load_dword v71, s[20:23], 0 offen lds               // 000000004AE4: E0511000 80050047
	s_add_u32 m0, 0x600, s48                                   // 000000004AEC: 807C30FF 00000600
	v_mfma_f32_16x16x32_fp8_fp8 v[104:107], a[160:161], a[32:33], v[104:107]// 000000004AF4: D3F30068 1DA241A0
	v_mfma_f32_16x16x32_fp8_fp8 v[104:107], a[162:163], a[34:35], v[104:107]// 000000004AFC: D3F30068 1DA245A2
	buffer_load_dword v72, s[20:23], 0 offen lds               // 000000004B04: E0511000 80050048
	s_add_u32 m0, 0x700, s48                                   // 000000004B0C: 807C30FF 00000700
	v_mfma_f32_16x16x32_fp8_fp8 v[104:107], a[164:165], a[36:37], v[104:107]// 000000004B14: D3F30068 1DA249A4
	v_mfma_f32_16x16x32_fp8_fp8 v[104:107], a[166:167], a[38:39], v[104:107]// 000000004B1C: D3F30068 1DA24DA6
	buffer_load_dword v73, s[20:23], 0 offen lds               // 000000004B24: E0511000 80050049
	s_add_u32 m0, 0x800, s48                                   // 000000004B2C: 807C30FF 00000800
	v_mfma_f32_16x16x32_fp8_fp8 v[108:111], a[160:161], a[40:41], v[108:111]// 000000004B34: D3F3006C 1DB251A0
	v_mfma_f32_16x16x32_fp8_fp8 v[108:111], a[162:163], a[42:43], v[108:111]// 000000004B3C: D3F3006C 1DB255A2
	buffer_load_dword v74, s[20:23], 0 offen lds               // 000000004B44: E0511000 8005004A
	s_add_u32 m0, 0x900, s48                                   // 000000004B4C: 807C30FF 00000900
	v_mfma_f32_16x16x32_fp8_fp8 v[108:111], a[164:165], a[44:45], v[108:111]// 000000004B54: D3F3006C 1DB259A4
	v_mfma_f32_16x16x32_fp8_fp8 v[108:111], a[166:167], a[46:47], v[108:111]// 000000004B5C: D3F3006C 1DB25DA6
	buffer_load_dword v75, s[20:23], 0 offen lds               // 000000004B64: E0511000 8005004B
	s_add_u32 m0, 0xa00, s48                                   // 000000004B6C: 807C30FF 00000A00
	v_mfma_f32_16x16x32_fp8_fp8 v[112:115], a[160:161], a[48:49], v[112:115]// 000000004B74: D3F30070 1DC261A0
	v_mfma_f32_16x16x32_fp8_fp8 v[112:115], a[162:163], a[50:51], v[112:115]// 000000004B7C: D3F30070 1DC265A2
	buffer_load_dword v76, s[20:23], 0 offen lds               // 000000004B84: E0511000 8005004C
	s_add_u32 m0, 0xb00, s48                                   // 000000004B8C: 807C30FF 00000B00
	v_mfma_f32_16x16x32_fp8_fp8 v[112:115], a[164:165], a[52:53], v[112:115]// 000000004B94: D3F30070 1DC269A4
	v_mfma_f32_16x16x32_fp8_fp8 v[112:115], a[166:167], a[54:55], v[112:115]// 000000004B9C: D3F30070 1DC26DA6
	buffer_load_dword v77, s[20:23], 0 offen lds               // 000000004BA4: E0511000 8005004D
	s_add_u32 m0, 0xc00, s48                                   // 000000004BAC: 807C30FF 00000C00
	v_mfma_f32_16x16x32_fp8_fp8 v[116:119], a[160:161], a[56:57], v[116:119]// 000000004BB4: D3F30074 1DD271A0
	v_mfma_f32_16x16x32_fp8_fp8 v[116:119], a[162:163], a[58:59], v[116:119]// 000000004BBC: D3F30074 1DD275A2
	buffer_load_dword v78, s[20:23], 0 offen lds               // 000000004BC4: E0511000 8005004E
	s_add_u32 m0, 0xd00, s48                                   // 000000004BCC: 807C30FF 00000D00
	v_mfma_f32_16x16x32_fp8_fp8 v[116:119], a[164:165], a[60:61], v[116:119]// 000000004BD4: D3F30074 1DD279A4
	v_mfma_f32_16x16x32_fp8_fp8 v[116:119], a[166:167], a[62:63], v[116:119]// 000000004BDC: D3F30074 1DD27DA6
	buffer_load_dword v79, s[20:23], 0 offen lds               // 000000004BE4: E0511000 8005004F
	s_add_u32 m0, 0xe00, s48                                   // 000000004BEC: 807C30FF 00000E00
	v_mfma_f32_16x16x32_fp8_fp8 v[120:123], a[160:161], a[64:65], v[120:123]// 000000004BF4: D3F30078 1DE281A0
	v_mfma_f32_16x16x32_fp8_fp8 v[120:123], a[162:163], a[66:67], v[120:123]// 000000004BFC: D3F30078 1DE285A2
	buffer_load_dword v80, s[20:23], 0 offen lds               // 000000004C04: E0511000 80050050
	s_add_u32 m0, 0xf00, s48                                   // 000000004C0C: 807C30FF 00000F00
	v_mfma_f32_16x16x32_fp8_fp8 v[120:123], a[164:165], a[68:69], v[120:123]// 000000004C14: D3F30078 1DE289A4
	v_mfma_f32_16x16x32_fp8_fp8 v[120:123], a[166:167], a[70:71], v[120:123]// 000000004C1C: D3F30078 1DE28DA6
	buffer_load_dword v81, s[20:23], 0 offen lds               // 000000004C24: E0511000 80050051
	s_add_u32 m0, 0x1000, s48                                  // 000000004C2C: 807C30FF 00001000
	buffer_load_dword v82, s[20:23], 0 offen lds               // 000000004C34: E0511000 80050052
	s_add_u32 m0, 0x1100, s48                                  // 000000004C3C: 807C30FF 00001100
	buffer_load_dword v83, s[20:23], 0 offen lds               // 000000004C44: E0511000 80050053
	s_add_u32 m0, 0, s49                                       // 000000004C4C: 807C3180
	s_waitcnt vmcnt(20)                                        // 000000004C50: BF8C4F74
	s_barrier                                                  // 000000004C54: BF8A0000
	v_mfma_f32_16x16x32_fp8_fp8 v[124:127], a[144:145], a[0:1], v[124:127]// 000000004C58: D3F3007C 1DF20190
	v_mfma_f32_16x16x32_fp8_fp8 v[124:127], a[146:147], a[2:3], v[124:127]// 000000004C60: D3F3007C 1DF20592
	buffer_load_dwordx4 a[160:163], v84, s[84:87], 0 offen     // 000000004C68: E05C1000 8095A054
	v_mfma_f32_16x16x32_fp8_fp8 v[124:127], a[148:149], a[4:5], v[124:127]// 000000004C70: D3F3007C 1DF20994
	v_mfma_f32_16x16x32_fp8_fp8 v[124:127], a[150:151], a[6:7], v[124:127]// 000000004C78: D3F3007C 1DF20D96
	ds_read_b128 a[72:75], v2 offset:37120                     // 000000004C80: DBFE9100 48000002
	ds_read_b128 a[76:79], v2 offset:37184                     // 000000004C88: DBFE9140 4C000002
	v_mfma_f32_16x16x32_fp8_fp8 v[128:131], a[144:145], a[8:9], v[128:131]// 000000004C90: D3F30080 1E021190
	v_mfma_f32_16x16x32_fp8_fp8 v[128:131], a[146:147], a[10:11], v[128:131]// 000000004C98: D3F30080 1E021592
	buffer_load_dwordx4 a[164:167], v84, s[84:87], 0 offen offset:1024// 000000004CA0: E05C1400 8095A454
	v_mfma_f32_16x16x32_fp8_fp8 v[128:131], a[148:149], a[12:13], v[128:131]// 000000004CA8: D3F30080 1E021994
	v_mfma_f32_16x16x32_fp8_fp8 v[128:131], a[150:151], a[14:15], v[128:131]// 000000004CB0: D3F30080 1E021D96
	ds_read_b128 a[80:83], v2 offset:37632                     // 000000004CB8: DBFE9300 50000002
	ds_read_b128 a[84:87], v2 offset:37696                     // 000000004CC0: DBFE9340 54000002
	v_mfma_f32_16x16x32_fp8_fp8 v[132:135], a[144:145], a[16:17], v[132:135]// 000000004CC8: D3F30084 1E122190
	v_mfma_f32_16x16x32_fp8_fp8 v[132:135], a[146:147], a[18:19], v[132:135]// 000000004CD0: D3F30084 1E122592
	v_mfma_f32_16x16x32_fp8_fp8 v[132:135], a[148:149], a[20:21], v[132:135]// 000000004CD8: D3F30084 1E122994
	v_mfma_f32_16x16x32_fp8_fp8 v[132:135], a[150:151], a[22:23], v[132:135]// 000000004CE0: D3F30084 1E122D96
	ds_read_b128 a[88:91], v2 offset:38144                     // 000000004CE8: DBFE9500 58000002
	ds_read_b128 a[92:95], v2 offset:38208                     // 000000004CF0: DBFE9540 5C000002
	v_mfma_f32_16x16x32_fp8_fp8 v[136:139], a[144:145], a[24:25], v[136:139]// 000000004CF8: D3F30088 1E223190
	v_mfma_f32_16x16x32_fp8_fp8 v[136:139], a[146:147], a[26:27], v[136:139]// 000000004D00: D3F30088 1E223592
	v_mfma_f32_16x16x32_fp8_fp8 v[136:139], a[148:149], a[28:29], v[136:139]// 000000004D08: D3F30088 1E223994
	v_mfma_f32_16x16x32_fp8_fp8 v[136:139], a[150:151], a[30:31], v[136:139]// 000000004D10: D3F30088 1E223D96
	ds_read_b128 a[96:99], v2 offset:38656                     // 000000004D18: DBFE9700 60000002
	ds_read_b128 a[100:103], v2 offset:38720                   // 000000004D20: DBFE9740 64000002
	v_mfma_f32_16x16x32_fp8_fp8 v[140:143], a[144:145], a[32:33], v[140:143]// 000000004D28: D3F3008C 1E324190
	v_mfma_f32_16x16x32_fp8_fp8 v[140:143], a[146:147], a[34:35], v[140:143]// 000000004D30: D3F3008C 1E324592
	v_mfma_f32_16x16x32_fp8_fp8 v[140:143], a[148:149], a[36:37], v[140:143]// 000000004D38: D3F3008C 1E324994
	v_mfma_f32_16x16x32_fp8_fp8 v[140:143], a[150:151], a[38:39], v[140:143]// 000000004D40: D3F3008C 1E324D96
	ds_read_b128 a[104:107], v2 offset:39168                   // 000000004D48: DBFE9900 68000002
	ds_read_b128 a[108:111], v2 offset:39232                   // 000000004D50: DBFE9940 6C000002
	v_mfma_f32_16x16x32_fp8_fp8 v[144:147], a[144:145], a[40:41], v[144:147]// 000000004D58: D3F30090 1E425190
	v_mfma_f32_16x16x32_fp8_fp8 v[144:147], a[146:147], a[42:43], v[144:147]// 000000004D60: D3F30090 1E425592
	v_mfma_f32_16x16x32_fp8_fp8 v[144:147], a[148:149], a[44:45], v[144:147]// 000000004D68: D3F30090 1E425994
	v_mfma_f32_16x16x32_fp8_fp8 v[144:147], a[150:151], a[46:47], v[144:147]// 000000004D70: D3F30090 1E425D96
	ds_read_b128 a[112:115], v2 offset:39680                   // 000000004D78: DBFE9B00 70000002
	ds_read_b128 a[116:119], v2 offset:39744                   // 000000004D80: DBFE9B40 74000002
	v_mfma_f32_16x16x32_fp8_fp8 v[148:151], a[144:145], a[48:49], v[148:151]// 000000004D88: D3F30094 1E526190
	v_mfma_f32_16x16x32_fp8_fp8 v[148:151], a[146:147], a[50:51], v[148:151]// 000000004D90: D3F30094 1E526592
	v_mfma_f32_16x16x32_fp8_fp8 v[148:151], a[148:149], a[52:53], v[148:151]// 000000004D98: D3F30094 1E526994
	v_mfma_f32_16x16x32_fp8_fp8 v[148:151], a[150:151], a[54:55], v[148:151]// 000000004DA0: D3F30094 1E526D96
	ds_read_b128 a[120:123], v2 offset:40192                   // 000000004DA8: DBFE9D00 78000002
	ds_read_b128 a[124:127], v2 offset:40256                   // 000000004DB0: DBFE9D40 7C000002
	v_mfma_f32_16x16x32_fp8_fp8 v[152:155], a[144:145], a[56:57], v[152:155]// 000000004DB8: D3F30098 1E627190
	s_add_u32 s60, 0x180, s80                                  // 000000004DC0: 803C50FF 00000180
	s_cmp_lt_u32 s60, s81                                      // 000000004DC8: BF0A513C
	s_cselect_b32 s57, s57, 0                                  // 000000004DCC: 85398039
	v_mfma_f32_16x16x32_fp8_fp8 v[152:155], a[146:147], a[58:59], v[152:155]// 000000004DD0: D3F30098 1E627592
	s_add_u32 s60, 0x100, s80                                  // 000000004DD8: 803C50FF 00000100
	s_cmp_lt_u32 s60, s81                                      // 000000004DE0: BF0A513C
	s_cselect_b32 s58, s58, 0                                  // 000000004DE4: 853A803A
	v_mfma_f32_16x16x32_fp8_fp8 v[152:155], a[148:149], a[60:61], v[152:155]// 000000004DE8: D3F30098 1E627994
	s_add_u32 s60, 0x100, s80                                  // 000000004DF0: 803C50FF 00000100
	s_cmp_lt_u32 s60, s81                                      // 000000004DF8: BF0A513C
	s_cselect_b32 s83, s83, 0                                  // 000000004DFC: 85538053
	v_mfma_f32_16x16x32_fp8_fp8 v[152:155], a[150:151], a[62:63], v[152:155]// 000000004E00: D3F30098 1E627D96
	ds_read_b128 a[128:131], v2 offset:40704                   // 000000004E08: DBFE9F00 80000002
	ds_read_b128 a[132:135], v2 offset:40768                   // 000000004E10: DBFE9F40 84000002
	s_add_u32 s24, s58, s24                                    // 000000004E18: 8018183A
	s_addc_u32 s25, 0, s25                                     // 000000004E1C: 82191980
	v_mfma_f32_16x16x32_fp8_fp8 v[156:159], a[144:145], a[64:65], v[156:159]// 000000004E20: D3F3009C 1E728190
	s_add_u32 s20, s57, s20                                    // 000000004E28: 80141439
	s_addc_u32 s21, 0, s21                                     // 000000004E2C: 82151580
	v_mfma_f32_16x16x32_fp8_fp8 v[156:159], a[146:147], a[66:67], v[156:159]// 000000004E30: D3F3009C 1E728592
	s_add_u32 s84, s83, s84                                    // 000000004E38: 80545453
	s_addc_u32 s85, 0, s85                                     // 000000004E3C: 82555580
	v_mfma_f32_16x16x32_fp8_fp8 v[156:159], a[148:149], a[68:69], v[156:159]// 000000004E40: D3F3009C 1E728994
	v_mfma_f32_16x16x32_fp8_fp8 v[156:159], a[150:151], a[70:71], v[156:159]// 000000004E48: D3F3009C 1E728D96
	ds_read_b128 a[136:139], v2 offset:41216                   // 000000004E50: DBFEA100 88000002
	ds_read_b128 a[140:143], v2 offset:41280                   // 000000004E58: DBFEA140 8C000002
	s_addk_i32 s80, 0x80                                       // 000000004E60: B7500080
	s_cmp_lt_i32 s80, s81                                      // 000000004E64: BF045150
	s_cbranch_scc0 label_0A37                                  // 000000004E68: BF84011C
	s_waitcnt vmcnt(20) lgkmcnt(0)                             // 000000004E6C: BF8C4074
	v_mfma_f32_16x16x32_fp8_fp8 v[88:91], a[152:153], a[72:73], v[88:91]// 000000004E70: D3F30058 1D629198
	v_mfma_f32_16x16x32_fp8_fp8 v[88:91], a[154:155], a[74:75], v[88:91]// 000000004E78: D3F30058 1D62959A
	buffer_load_dwordx4 a[144:147], v84, s[24:27], 0 offen     // 000000004E80: E05C1000 80869054
	v_mfma_f32_16x16x32_fp8_fp8 v[88:91], a[156:157], a[76:77], v[88:91]// 000000004E88: D3F30058 1D62999C
	v_mfma_f32_16x16x32_fp8_fp8 v[88:91], a[158:159], a[78:79], v[88:91]// 000000004E90: D3F30058 1D629D9E
	v_mfma_f32_16x16x32_fp8_fp8 v[92:95], a[152:153], a[80:81], v[92:95]// 000000004E98: D3F3005C 1D72A198
	v_mfma_f32_16x16x32_fp8_fp8 v[92:95], a[154:155], a[82:83], v[92:95]// 000000004EA0: D3F3005C 1D72A59A
	buffer_load_dwordx4 a[148:151], v84, s[24:27], 0 offen offset:1024// 000000004EA8: E05C1400 80869454
	buffer_load_dword v66, s[20:23], 0 offen lds               // 000000004EB0: E0511000 80050042
	s_add_u32 m0, 0x100, s49                                   // 000000004EB8: 807C31FF 00000100
	v_mfma_f32_16x16x32_fp8_fp8 v[92:95], a[156:157], a[84:85], v[92:95]// 000000004EC0: D3F3005C 1D72A99C
	v_mfma_f32_16x16x32_fp8_fp8 v[92:95], a[158:159], a[86:87], v[92:95]// 000000004EC8: D3F3005C 1D72AD9E
	buffer_load_dword v67, s[20:23], 0 offen lds               // 000000004ED0: E0511000 80050043
	s_add_u32 m0, 0x200, s49                                   // 000000004ED8: 807C31FF 00000200
	v_mfma_f32_16x16x32_fp8_fp8 v[96:99], a[152:153], a[88:89], v[96:99]// 000000004EE0: D3F30060 1D82B198
	v_mfma_f32_16x16x32_fp8_fp8 v[96:99], a[154:155], a[90:91], v[96:99]// 000000004EE8: D3F30060 1D82B59A
	buffer_load_dword v68, s[20:23], 0 offen lds               // 000000004EF0: E0511000 80050044
	s_add_u32 m0, 0x300, s49                                   // 000000004EF8: 807C31FF 00000300
	v_mfma_f32_16x16x32_fp8_fp8 v[96:99], a[156:157], a[92:93], v[96:99]// 000000004F00: D3F30060 1D82B99C
	v_mfma_f32_16x16x32_fp8_fp8 v[96:99], a[158:159], a[94:95], v[96:99]// 000000004F08: D3F30060 1D82BD9E
	buffer_load_dword v69, s[20:23], 0 offen lds               // 000000004F10: E0511000 80050045
	s_add_u32 m0, 0x400, s49                                   // 000000004F18: 807C31FF 00000400
	v_mfma_f32_16x16x32_fp8_fp8 v[100:103], a[152:153], a[96:97], v[100:103]// 000000004F20: D3F30064 1D92C198
	v_mfma_f32_16x16x32_fp8_fp8 v[100:103], a[154:155], a[98:99], v[100:103]// 000000004F28: D3F30064 1D92C59A
	buffer_load_dword v70, s[20:23], 0 offen lds               // 000000004F30: E0511000 80050046
	s_add_u32 m0, 0x500, s49                                   // 000000004F38: 807C31FF 00000500
	v_mfma_f32_16x16x32_fp8_fp8 v[100:103], a[156:157], a[100:101], v[100:103]// 000000004F40: D3F30064 1D92C99C
	v_mfma_f32_16x16x32_fp8_fp8 v[100:103], a[158:159], a[102:103], v[100:103]// 000000004F48: D3F30064 1D92CD9E
	buffer_load_dword v71, s[20:23], 0 offen lds               // 000000004F50: E0511000 80050047
	s_add_u32 m0, 0x600, s49                                   // 000000004F58: 807C31FF 00000600
	v_mfma_f32_16x16x32_fp8_fp8 v[104:107], a[152:153], a[104:105], v[104:107]// 000000004F60: D3F30068 1DA2D198
	v_mfma_f32_16x16x32_fp8_fp8 v[104:107], a[154:155], a[106:107], v[104:107]// 000000004F68: D3F30068 1DA2D59A
	buffer_load_dword v72, s[20:23], 0 offen lds               // 000000004F70: E0511000 80050048
	s_add_u32 m0, 0x700, s49                                   // 000000004F78: 807C31FF 00000700
	v_mfma_f32_16x16x32_fp8_fp8 v[104:107], a[156:157], a[108:109], v[104:107]// 000000004F80: D3F30068 1DA2D99C
	v_mfma_f32_16x16x32_fp8_fp8 v[104:107], a[158:159], a[110:111], v[104:107]// 000000004F88: D3F30068 1DA2DD9E
	buffer_load_dword v73, s[20:23], 0 offen lds               // 000000004F90: E0511000 80050049
	s_add_u32 m0, 0x800, s49                                   // 000000004F98: 807C31FF 00000800
	v_mfma_f32_16x16x32_fp8_fp8 v[108:111], a[152:153], a[112:113], v[108:111]// 000000004FA0: D3F3006C 1DB2E198
	v_mfma_f32_16x16x32_fp8_fp8 v[108:111], a[154:155], a[114:115], v[108:111]// 000000004FA8: D3F3006C 1DB2E59A
	buffer_load_dword v74, s[20:23], 0 offen lds               // 000000004FB0: E0511000 8005004A
	s_add_u32 m0, 0x900, s49                                   // 000000004FB8: 807C31FF 00000900
	v_mfma_f32_16x16x32_fp8_fp8 v[108:111], a[156:157], a[116:117], v[108:111]// 000000004FC0: D3F3006C 1DB2E99C
	v_mfma_f32_16x16x32_fp8_fp8 v[108:111], a[158:159], a[118:119], v[108:111]// 000000004FC8: D3F3006C 1DB2ED9E
	buffer_load_dword v75, s[20:23], 0 offen lds               // 000000004FD0: E0511000 8005004B
	s_add_u32 m0, 0xa00, s49                                   // 000000004FD8: 807C31FF 00000A00
	v_mfma_f32_16x16x32_fp8_fp8 v[112:115], a[152:153], a[120:121], v[112:115]// 000000004FE0: D3F30070 1DC2F198
	v_mfma_f32_16x16x32_fp8_fp8 v[112:115], a[154:155], a[122:123], v[112:115]// 000000004FE8: D3F30070 1DC2F59A
	buffer_load_dword v76, s[20:23], 0 offen lds               // 000000004FF0: E0511000 8005004C
	s_add_u32 m0, 0xb00, s49                                   // 000000004FF8: 807C31FF 00000B00
	v_mfma_f32_16x16x32_fp8_fp8 v[112:115], a[156:157], a[124:125], v[112:115]// 000000005000: D3F30070 1DC2F99C
	v_mfma_f32_16x16x32_fp8_fp8 v[112:115], a[158:159], a[126:127], v[112:115]// 000000005008: D3F30070 1DC2FD9E
	buffer_load_dword v77, s[20:23], 0 offen lds               // 000000005010: E0511000 8005004D
	s_add_u32 m0, 0xc00, s49                                   // 000000005018: 807C31FF 00000C00
	v_mfma_f32_16x16x32_fp8_fp8 v[116:119], a[152:153], a[128:129], v[116:119]// 000000005020: D3F30074 1DD30198
	v_mfma_f32_16x16x32_fp8_fp8 v[116:119], a[154:155], a[130:131], v[116:119]// 000000005028: D3F30074 1DD3059A
	buffer_load_dword v78, s[20:23], 0 offen lds               // 000000005030: E0511000 8005004E
	s_add_u32 m0, 0xd00, s49                                   // 000000005038: 807C31FF 00000D00
	v_mfma_f32_16x16x32_fp8_fp8 v[116:119], a[156:157], a[132:133], v[116:119]// 000000005040: D3F30074 1DD3099C
	v_mfma_f32_16x16x32_fp8_fp8 v[116:119], a[158:159], a[134:135], v[116:119]// 000000005048: D3F30074 1DD30D9E
	buffer_load_dword v79, s[20:23], 0 offen lds               // 000000005050: E0511000 8005004F
	s_add_u32 m0, 0xe00, s49                                   // 000000005058: 807C31FF 00000E00
	v_mfma_f32_16x16x32_fp8_fp8 v[120:123], a[152:153], a[136:137], v[120:123]// 000000005060: D3F30078 1DE31198
	v_mfma_f32_16x16x32_fp8_fp8 v[120:123], a[154:155], a[138:139], v[120:123]// 000000005068: D3F30078 1DE3159A
	buffer_load_dword v80, s[20:23], 0 offen lds               // 000000005070: E0511000 80050050
	s_add_u32 m0, 0xf00, s49                                   // 000000005078: 807C31FF 00000F00
	v_mfma_f32_16x16x32_fp8_fp8 v[120:123], a[156:157], a[140:141], v[120:123]// 000000005080: D3F30078 1DE3199C
	v_mfma_f32_16x16x32_fp8_fp8 v[120:123], a[158:159], a[142:143], v[120:123]// 000000005088: D3F30078 1DE31D9E
	buffer_load_dword v81, s[20:23], 0 offen lds               // 000000005090: E0511000 80050051
	s_add_u32 m0, 0x1000, s49                                  // 000000005098: 807C31FF 00001000
	buffer_load_dword v82, s[20:23], 0 offen lds               // 0000000050A0: E0511000 80050052
	s_add_u32 m0, 0x1100, s49                                  // 0000000050A8: 807C31FF 00001100
	buffer_load_dword v83, s[20:23], 0 offen lds               // 0000000050B0: E0511000 80050053
	s_add_u32 m0, 0, s50                                       // 0000000050B8: 807C3280
	s_waitcnt vmcnt(20)                                        // 0000000050BC: BF8C4F74
	s_barrier                                                  // 0000000050C0: BF8A0000
	v_mfma_f32_16x16x32_fp8_fp8 v[124:127], a[160:161], a[72:73], v[124:127]// 0000000050C4: D3F3007C 1DF291A0
	v_mfma_f32_16x16x32_fp8_fp8 v[124:127], a[162:163], a[74:75], v[124:127]// 0000000050CC: D3F3007C 1DF295A2
	buffer_load_dwordx4 a[152:155], v84, s[84:87], 0 offen     // 0000000050D4: E05C1000 80959854
	v_mfma_f32_16x16x32_fp8_fp8 v[124:127], a[164:165], a[76:77], v[124:127]// 0000000050DC: D3F3007C 1DF299A4
	v_mfma_f32_16x16x32_fp8_fp8 v[124:127], a[166:167], a[78:79], v[124:127]// 0000000050E4: D3F3007C 1DF29DA6
	ds_read_b128 a[0:3], v2                                    // 0000000050EC: DBFE0000 00000002
	ds_read_b128 a[4:7], v2 offset:64                          // 0000000050F4: DBFE0040 04000002
	v_mfma_f32_16x16x32_fp8_fp8 v[128:131], a[160:161], a[80:81], v[128:131]// 0000000050FC: D3F30080 1E02A1A0
	v_mfma_f32_16x16x32_fp8_fp8 v[128:131], a[162:163], a[82:83], v[128:131]// 000000005104: D3F30080 1E02A5A2
	buffer_load_dwordx4 a[156:159], v84, s[84:87], 0 offen offset:1024// 00000000510C: E05C1400 80959C54
	v_mfma_f32_16x16x32_fp8_fp8 v[128:131], a[164:165], a[84:85], v[128:131]// 000000005114: D3F30080 1E02A9A4
	v_mfma_f32_16x16x32_fp8_fp8 v[128:131], a[166:167], a[86:87], v[128:131]// 00000000511C: D3F30080 1E02ADA6
	ds_read_b128 a[8:11], v2 offset:512                        // 000000005124: DBFE0200 08000002
	ds_read_b128 a[12:15], v2 offset:576                       // 00000000512C: DBFE0240 0C000002
	v_mfma_f32_16x16x32_fp8_fp8 v[132:135], a[160:161], a[88:89], v[132:135]// 000000005134: D3F30084 1E12B1A0
	v_mfma_f32_16x16x32_fp8_fp8 v[132:135], a[162:163], a[90:91], v[132:135]// 00000000513C: D3F30084 1E12B5A2
	v_mfma_f32_16x16x32_fp8_fp8 v[132:135], a[164:165], a[92:93], v[132:135]// 000000005144: D3F30084 1E12B9A4
	v_mfma_f32_16x16x32_fp8_fp8 v[132:135], a[166:167], a[94:95], v[132:135]// 00000000514C: D3F30084 1E12BDA6
	ds_read_b128 a[16:19], v2 offset:1024                      // 000000005154: DBFE0400 10000002
	ds_read_b128 a[20:23], v2 offset:1088                      // 00000000515C: DBFE0440 14000002
	v_mfma_f32_16x16x32_fp8_fp8 v[136:139], a[160:161], a[96:97], v[136:139]// 000000005164: D3F30088 1E22C1A0
	v_mfma_f32_16x16x32_fp8_fp8 v[136:139], a[162:163], a[98:99], v[136:139]// 00000000516C: D3F30088 1E22C5A2
	v_mfma_f32_16x16x32_fp8_fp8 v[136:139], a[164:165], a[100:101], v[136:139]// 000000005174: D3F30088 1E22C9A4
	v_mfma_f32_16x16x32_fp8_fp8 v[136:139], a[166:167], a[102:103], v[136:139]// 00000000517C: D3F30088 1E22CDA6
	ds_read_b128 a[24:27], v2 offset:1536                      // 000000005184: DBFE0600 18000002
	ds_read_b128 a[28:31], v2 offset:1600                      // 00000000518C: DBFE0640 1C000002
	v_mfma_f32_16x16x32_fp8_fp8 v[140:143], a[160:161], a[104:105], v[140:143]// 000000005194: D3F3008C 1E32D1A0
	v_mfma_f32_16x16x32_fp8_fp8 v[140:143], a[162:163], a[106:107], v[140:143]// 00000000519C: D3F3008C 1E32D5A2
	v_mfma_f32_16x16x32_fp8_fp8 v[140:143], a[164:165], a[108:109], v[140:143]// 0000000051A4: D3F3008C 1E32D9A4
	v_mfma_f32_16x16x32_fp8_fp8 v[140:143], a[166:167], a[110:111], v[140:143]// 0000000051AC: D3F3008C 1E32DDA6
	ds_read_b128 a[32:35], v2 offset:2048                      // 0000000051B4: DBFE0800 20000002
	ds_read_b128 a[36:39], v2 offset:2112                      // 0000000051BC: DBFE0840 24000002
	v_mfma_f32_16x16x32_fp8_fp8 v[144:147], a[160:161], a[112:113], v[144:147]// 0000000051C4: D3F30090 1E42E1A0
	v_mfma_f32_16x16x32_fp8_fp8 v[144:147], a[162:163], a[114:115], v[144:147]// 0000000051CC: D3F30090 1E42E5A2
	v_mfma_f32_16x16x32_fp8_fp8 v[144:147], a[164:165], a[116:117], v[144:147]// 0000000051D4: D3F30090 1E42E9A4
	v_mfma_f32_16x16x32_fp8_fp8 v[144:147], a[166:167], a[118:119], v[144:147]// 0000000051DC: D3F30090 1E42EDA6
	ds_read_b128 a[40:43], v2 offset:2560                      // 0000000051E4: DBFE0A00 28000002
	ds_read_b128 a[44:47], v2 offset:2624                      // 0000000051EC: DBFE0A40 2C000002
	v_mfma_f32_16x16x32_fp8_fp8 v[148:151], a[160:161], a[120:121], v[148:151]// 0000000051F4: D3F30094 1E52F1A0
	v_mfma_f32_16x16x32_fp8_fp8 v[148:151], a[162:163], a[122:123], v[148:151]// 0000000051FC: D3F30094 1E52F5A2
	v_mfma_f32_16x16x32_fp8_fp8 v[148:151], a[164:165], a[124:125], v[148:151]// 000000005204: D3F30094 1E52F9A4
	v_mfma_f32_16x16x32_fp8_fp8 v[148:151], a[166:167], a[126:127], v[148:151]// 00000000520C: D3F30094 1E52FDA6
	ds_read_b128 a[48:51], v2 offset:3072                      // 000000005214: DBFE0C00 30000002
	ds_read_b128 a[52:55], v2 offset:3136                      // 00000000521C: DBFE0C40 34000002
	v_mfma_f32_16x16x32_fp8_fp8 v[152:155], a[160:161], a[128:129], v[152:155]// 000000005224: D3F30098 1E6301A0
	s_add_u32 s60, 0x180, s80                                  // 00000000522C: 803C50FF 00000180
	s_cmp_lt_u32 s60, s81                                      // 000000005234: BF0A513C
	s_cselect_b32 s57, s57, 0                                  // 000000005238: 85398039
	v_mfma_f32_16x16x32_fp8_fp8 v[152:155], a[162:163], a[130:131], v[152:155]// 00000000523C: D3F30098 1E6305A2
	s_add_u32 s60, 0x100, s80                                  // 000000005244: 803C50FF 00000100
	s_cmp_lt_u32 s60, s81                                      // 00000000524C: BF0A513C
	s_cselect_b32 s58, s58, 0                                  // 000000005250: 853A803A
	v_mfma_f32_16x16x32_fp8_fp8 v[152:155], a[164:165], a[132:133], v[152:155]// 000000005254: D3F30098 1E6309A4
	s_add_u32 s60, 0x100, s80                                  // 00000000525C: 803C50FF 00000100
	s_cmp_lt_u32 s60, s81                                      // 000000005264: BF0A513C
	s_cselect_b32 s83, s83, 0                                  // 000000005268: 85538053
	v_mfma_f32_16x16x32_fp8_fp8 v[152:155], a[166:167], a[134:135], v[152:155]// 00000000526C: D3F30098 1E630DA6
	ds_read_b128 a[56:59], v2 offset:3584                      // 000000005274: DBFE0E00 38000002
	ds_read_b128 a[60:63], v2 offset:3648                      // 00000000527C: DBFE0E40 3C000002
	s_add_u32 s24, s58, s24                                    // 000000005284: 8018183A
	s_addc_u32 s25, 0, s25                                     // 000000005288: 82191980
	v_mfma_f32_16x16x32_fp8_fp8 v[156:159], a[160:161], a[136:137], v[156:159]// 00000000528C: D3F3009C 1E7311A0
	s_add_u32 s20, s57, s20                                    // 000000005294: 80141439
	s_addc_u32 s21, 0, s21                                     // 000000005298: 82151580
	v_mfma_f32_16x16x32_fp8_fp8 v[156:159], a[162:163], a[138:139], v[156:159]// 00000000529C: D3F3009C 1E7315A2
	s_add_u32 s84, s83, s84                                    // 0000000052A4: 80545453
	s_addc_u32 s85, 0, s85                                     // 0000000052A8: 82555580
	v_mfma_f32_16x16x32_fp8_fp8 v[156:159], a[164:165], a[140:141], v[156:159]// 0000000052AC: D3F3009C 1E7319A4
	v_mfma_f32_16x16x32_fp8_fp8 v[156:159], a[166:167], a[142:143], v[156:159]// 0000000052B4: D3F3009C 1E731DA6
	ds_read_b128 a[64:67], v2 offset:4096                      // 0000000052BC: DBFE1000 40000002
	ds_read_b128 a[68:71], v2 offset:4160                      // 0000000052C4: DBFE1040 44000002
	s_addk_i32 s80, 0x80                                       // 0000000052CC: B7500080
	s_cmp_lt_i32 s80, s81                                      // 0000000052D0: BF045150
	s_cbranch_scc0 label_0A37                                  // 0000000052D4: BF840001
	s_branch label_0394                                        // 0000000052D8: BF82F95D

00000000000052dc <label_0A37>:
	v_mul_f32_dpp v88, v24, v88 row_newbcast:0 row_mask:0xf bank_mask:0xf// 0000000052DC: 0AB0B0FA FF015018
	v_mul_f32_dpp v89, v24, v89 row_newbcast:1 row_mask:0xf bank_mask:0xf// 0000000052E4: 0AB2B2FA FF015118
	v_mul_f32_dpp v90, v24, v90 row_newbcast:2 row_mask:0xf bank_mask:0xf// 0000000052EC: 0AB4B4FA FF015218
	v_mul_f32_dpp v91, v24, v91 row_newbcast:3 row_mask:0xf bank_mask:0xf// 0000000052F4: 0AB6B6FA FF015318
	v_mul_f32_dpp v92, v24, v92 row_newbcast:0 row_mask:0xf bank_mask:0xf// 0000000052FC: 0AB8B8FA FF015018
	v_mul_f32_dpp v93, v24, v93 row_newbcast:1 row_mask:0xf bank_mask:0xf// 000000005304: 0ABABAFA FF015118
	v_mul_f32_dpp v94, v24, v94 row_newbcast:2 row_mask:0xf bank_mask:0xf// 00000000530C: 0ABCBCFA FF015218
	v_mul_f32_dpp v95, v24, v95 row_newbcast:3 row_mask:0xf bank_mask:0xf// 000000005314: 0ABEBEFA FF015318
	v_mul_f32_dpp v96, v24, v96 row_newbcast:0 row_mask:0xf bank_mask:0xf// 00000000531C: 0AC0C0FA FF015018
	v_mul_f32_dpp v97, v24, v97 row_newbcast:1 row_mask:0xf bank_mask:0xf// 000000005324: 0AC2C2FA FF015118
	v_mul_f32_dpp v98, v24, v98 row_newbcast:2 row_mask:0xf bank_mask:0xf// 00000000532C: 0AC4C4FA FF015218
	v_mul_f32_dpp v99, v24, v99 row_newbcast:3 row_mask:0xf bank_mask:0xf// 000000005334: 0AC6C6FA FF015318
	v_mul_f32_dpp v100, v24, v100 row_newbcast:0 row_mask:0xf bank_mask:0xf// 00000000533C: 0AC8C8FA FF015018
	v_mul_f32_dpp v101, v24, v101 row_newbcast:1 row_mask:0xf bank_mask:0xf// 000000005344: 0ACACAFA FF015118
	v_mul_f32_dpp v102, v24, v102 row_newbcast:2 row_mask:0xf bank_mask:0xf// 00000000534C: 0ACCCCFA FF015218
	v_mul_f32_dpp v103, v24, v103 row_newbcast:3 row_mask:0xf bank_mask:0xf// 000000005354: 0ACECEFA FF015318
	v_mul_f32_dpp v104, v24, v104 row_newbcast:0 row_mask:0xf bank_mask:0xf// 00000000535C: 0AD0D0FA FF015018
	v_mul_f32_dpp v105, v24, v105 row_newbcast:1 row_mask:0xf bank_mask:0xf// 000000005364: 0AD2D2FA FF015118
	v_mul_f32_dpp v106, v24, v106 row_newbcast:2 row_mask:0xf bank_mask:0xf// 00000000536C: 0AD4D4FA FF015218
	v_mul_f32_dpp v107, v24, v107 row_newbcast:3 row_mask:0xf bank_mask:0xf// 000000005374: 0AD6D6FA FF015318
	v_mul_f32_dpp v108, v24, v108 row_newbcast:0 row_mask:0xf bank_mask:0xf// 00000000537C: 0AD8D8FA FF015018
	v_mul_f32_dpp v109, v24, v109 row_newbcast:1 row_mask:0xf bank_mask:0xf// 000000005384: 0ADADAFA FF015118
	v_mul_f32_dpp v110, v24, v110 row_newbcast:2 row_mask:0xf bank_mask:0xf// 00000000538C: 0ADCDCFA FF015218
	v_mul_f32_dpp v111, v24, v111 row_newbcast:3 row_mask:0xf bank_mask:0xf// 000000005394: 0ADEDEFA FF015318
	v_mul_f32_dpp v112, v24, v112 row_newbcast:0 row_mask:0xf bank_mask:0xf// 00000000539C: 0AE0E0FA FF015018
	v_mul_f32_dpp v113, v24, v113 row_newbcast:1 row_mask:0xf bank_mask:0xf// 0000000053A4: 0AE2E2FA FF015118
	v_mul_f32_dpp v114, v24, v114 row_newbcast:2 row_mask:0xf bank_mask:0xf// 0000000053AC: 0AE4E4FA FF015218
	v_mul_f32_dpp v115, v24, v115 row_newbcast:3 row_mask:0xf bank_mask:0xf// 0000000053B4: 0AE6E6FA FF015318
	v_mul_f32_dpp v116, v24, v116 row_newbcast:0 row_mask:0xf bank_mask:0xf// 0000000053BC: 0AE8E8FA FF015018
	v_mul_f32_dpp v117, v24, v117 row_newbcast:1 row_mask:0xf bank_mask:0xf// 0000000053C4: 0AEAEAFA FF015118
	v_mul_f32_dpp v118, v24, v118 row_newbcast:2 row_mask:0xf bank_mask:0xf// 0000000053CC: 0AECECFA FF015218
	v_mul_f32_dpp v119, v24, v119 row_newbcast:3 row_mask:0xf bank_mask:0xf// 0000000053D4: 0AEEEEFA FF015318
	v_mul_f32_dpp v120, v24, v120 row_newbcast:0 row_mask:0xf bank_mask:0xf// 0000000053DC: 0AF0F0FA FF015018
	v_mul_f32_dpp v121, v24, v121 row_newbcast:1 row_mask:0xf bank_mask:0xf// 0000000053E4: 0AF2F2FA FF015118
	v_mul_f32_dpp v122, v24, v122 row_newbcast:2 row_mask:0xf bank_mask:0xf// 0000000053EC: 0AF4F4FA FF015218
	v_mul_f32_dpp v123, v24, v123 row_newbcast:3 row_mask:0xf bank_mask:0xf// 0000000053F4: 0AF6F6FA FF015318
	v_mul_f32_dpp v124, v27, v124 row_newbcast:0 row_mask:0xf bank_mask:0xf// 0000000053FC: 0AF8F8FA FF01501B
	v_mul_f32_dpp v125, v27, v125 row_newbcast:1 row_mask:0xf bank_mask:0xf// 000000005404: 0AFAFAFA FF01511B
	v_mul_f32_dpp v126, v27, v126 row_newbcast:2 row_mask:0xf bank_mask:0xf// 00000000540C: 0AFCFCFA FF01521B
	v_mul_f32_dpp v127, v27, v127 row_newbcast:3 row_mask:0xf bank_mask:0xf// 000000005414: 0AFEFEFA FF01531B
	v_mul_f32_dpp v128, v27, v128 row_newbcast:0 row_mask:0xf bank_mask:0xf// 00000000541C: 0B0100FA FF01501B
	v_mul_f32_dpp v129, v27, v129 row_newbcast:1 row_mask:0xf bank_mask:0xf// 000000005424: 0B0302FA FF01511B
	v_mul_f32_dpp v130, v27, v130 row_newbcast:2 row_mask:0xf bank_mask:0xf// 00000000542C: 0B0504FA FF01521B
	v_mul_f32_dpp v131, v27, v131 row_newbcast:3 row_mask:0xf bank_mask:0xf// 000000005434: 0B0706FA FF01531B
	v_mul_f32_dpp v132, v27, v132 row_newbcast:0 row_mask:0xf bank_mask:0xf// 00000000543C: 0B0908FA FF01501B
	v_mul_f32_dpp v133, v27, v133 row_newbcast:1 row_mask:0xf bank_mask:0xf// 000000005444: 0B0B0AFA FF01511B
	v_mul_f32_dpp v134, v27, v134 row_newbcast:2 row_mask:0xf bank_mask:0xf// 00000000544C: 0B0D0CFA FF01521B
	v_mul_f32_dpp v135, v27, v135 row_newbcast:3 row_mask:0xf bank_mask:0xf// 000000005454: 0B0F0EFA FF01531B
	v_mul_f32_dpp v136, v27, v136 row_newbcast:0 row_mask:0xf bank_mask:0xf// 00000000545C: 0B1110FA FF01501B
	v_mul_f32_dpp v137, v27, v137 row_newbcast:1 row_mask:0xf bank_mask:0xf// 000000005464: 0B1312FA FF01511B
	v_mul_f32_dpp v138, v27, v138 row_newbcast:2 row_mask:0xf bank_mask:0xf// 00000000546C: 0B1514FA FF01521B
	v_mul_f32_dpp v139, v27, v139 row_newbcast:3 row_mask:0xf bank_mask:0xf// 000000005474: 0B1716FA FF01531B
	v_mul_f32_dpp v140, v27, v140 row_newbcast:0 row_mask:0xf bank_mask:0xf// 00000000547C: 0B1918FA FF01501B
	v_mul_f32_dpp v141, v27, v141 row_newbcast:1 row_mask:0xf bank_mask:0xf// 000000005484: 0B1B1AFA FF01511B
	v_mul_f32_dpp v142, v27, v142 row_newbcast:2 row_mask:0xf bank_mask:0xf// 00000000548C: 0B1D1CFA FF01521B
	v_mul_f32_dpp v143, v27, v143 row_newbcast:3 row_mask:0xf bank_mask:0xf// 000000005494: 0B1F1EFA FF01531B
	v_mul_f32_dpp v144, v27, v144 row_newbcast:0 row_mask:0xf bank_mask:0xf// 00000000549C: 0B2120FA FF01501B
	v_mul_f32_dpp v145, v27, v145 row_newbcast:1 row_mask:0xf bank_mask:0xf// 0000000054A4: 0B2322FA FF01511B
	v_mul_f32_dpp v146, v27, v146 row_newbcast:2 row_mask:0xf bank_mask:0xf// 0000000054AC: 0B2524FA FF01521B
	v_mul_f32_dpp v147, v27, v147 row_newbcast:3 row_mask:0xf bank_mask:0xf// 0000000054B4: 0B2726FA FF01531B
	v_mul_f32_dpp v148, v27, v148 row_newbcast:0 row_mask:0xf bank_mask:0xf// 0000000054BC: 0B2928FA FF01501B
	v_mul_f32_dpp v149, v27, v149 row_newbcast:1 row_mask:0xf bank_mask:0xf// 0000000054C4: 0B2B2AFA FF01511B
	v_mul_f32_dpp v150, v27, v150 row_newbcast:2 row_mask:0xf bank_mask:0xf// 0000000054CC: 0B2D2CFA FF01521B
	v_mul_f32_dpp v151, v27, v151 row_newbcast:3 row_mask:0xf bank_mask:0xf// 0000000054D4: 0B2F2EFA FF01531B
	v_mul_f32_dpp v152, v27, v152 row_newbcast:0 row_mask:0xf bank_mask:0xf// 0000000054DC: 0B3130FA FF01501B
	v_mul_f32_dpp v153, v27, v153 row_newbcast:1 row_mask:0xf bank_mask:0xf// 0000000054E4: 0B3332FA FF01511B
	v_mul_f32_dpp v154, v27, v154 row_newbcast:2 row_mask:0xf bank_mask:0xf// 0000000054EC: 0B3534FA FF01521B
	v_mul_f32_dpp v155, v27, v155 row_newbcast:3 row_mask:0xf bank_mask:0xf// 0000000054F4: 0B3736FA FF01531B
	v_mul_f32_dpp v156, v27, v156 row_newbcast:0 row_mask:0xf bank_mask:0xf// 0000000054FC: 0B3938FA FF01501B
	v_mul_f32_dpp v157, v27, v157 row_newbcast:1 row_mask:0xf bank_mask:0xf// 000000005504: 0B3B3AFA FF01511B
	v_mul_f32_dpp v158, v27, v158 row_newbcast:2 row_mask:0xf bank_mask:0xf// 00000000550C: 0B3D3CFA FF01521B
	v_mul_f32_dpp v159, v27, v159 row_newbcast:3 row_mask:0xf bank_mask:0xf// 000000005514: 0B3F3EFA FF01531B
	v_mov_b32_e32 v4, v39                                      // 00000000551C: 7E080327
	v_mov_b32_e32 v5, v4                                       // 000000005520: 7E0A0304
	v_pk_mul_f32 v[88:89], v[4:5], v[88:89]                    // 000000005524: D3B14058 1802B104
	v_pk_mul_f32 v[124:125], v[4:5], v[124:125]                // 00000000552C: D3B1407C 1802F904
	v_pk_mul_f32 v[90:91], v[4:5], v[90:91]                    // 000000005534: D3B1405A 1802B504
	v_pk_mul_f32 v[126:127], v[4:5], v[126:127]                // 00000000553C: D3B1407E 1802FD04
	v_mov_b32_e32 v4, v40                                      // 000000005544: 7E080328
	v_mov_b32_e32 v5, v4                                       // 000000005548: 7E0A0304
	v_pk_mul_f32 v[92:93], v[4:5], v[92:93]                    // 00000000554C: D3B1405C 1802B904
	v_pk_mul_f32 v[128:129], v[4:5], v[128:129]                // 000000005554: D3B14080 18030104
	v_pk_mul_f32 v[94:95], v[4:5], v[94:95]                    // 00000000555C: D3B1405E 1802BD04
	v_pk_mul_f32 v[130:131], v[4:5], v[130:131]                // 000000005564: D3B14082 18030504
	v_mov_b32_e32 v4, v41                                      // 00000000556C: 7E080329
	v_mov_b32_e32 v5, v4                                       // 000000005570: 7E0A0304
	v_pk_mul_f32 v[96:97], v[4:5], v[96:97]                    // 000000005574: D3B14060 1802C104
	v_pk_mul_f32 v[132:133], v[4:5], v[132:133]                // 00000000557C: D3B14084 18030904
	v_pk_mul_f32 v[98:99], v[4:5], v[98:99]                    // 000000005584: D3B14062 1802C504
	v_pk_mul_f32 v[134:135], v[4:5], v[134:135]                // 00000000558C: D3B14086 18030D04
	v_mov_b32_e32 v4, v42                                      // 000000005594: 7E08032A
	v_mov_b32_e32 v5, v4                                       // 000000005598: 7E0A0304
	v_pk_mul_f32 v[100:101], v[4:5], v[100:101]                // 00000000559C: D3B14064 1802C904
	v_pk_mul_f32 v[136:137], v[4:5], v[136:137]                // 0000000055A4: D3B14088 18031104
	v_pk_mul_f32 v[102:103], v[4:5], v[102:103]                // 0000000055AC: D3B14066 1802CD04
	v_pk_mul_f32 v[138:139], v[4:5], v[138:139]                // 0000000055B4: D3B1408A 18031504
	v_mov_b32_e32 v4, v43                                      // 0000000055BC: 7E08032B
	v_mov_b32_e32 v5, v4                                       // 0000000055C0: 7E0A0304
	v_pk_mul_f32 v[104:105], v[4:5], v[104:105]                // 0000000055C4: D3B14068 1802D104
	v_pk_mul_f32 v[140:141], v[4:5], v[140:141]                // 0000000055CC: D3B1408C 18031904
	v_pk_mul_f32 v[106:107], v[4:5], v[106:107]                // 0000000055D4: D3B1406A 1802D504
	v_pk_mul_f32 v[142:143], v[4:5], v[142:143]                // 0000000055DC: D3B1408E 18031D04
	v_mov_b32_e32 v4, v44                                      // 0000000055E4: 7E08032C
	v_mov_b32_e32 v5, v4                                       // 0000000055E8: 7E0A0304
	v_pk_mul_f32 v[108:109], v[4:5], v[108:109]                // 0000000055EC: D3B1406C 1802D904
	v_pk_mul_f32 v[144:145], v[4:5], v[144:145]                // 0000000055F4: D3B14090 18032104
	v_pk_mul_f32 v[110:111], v[4:5], v[110:111]                // 0000000055FC: D3B1406E 1802DD04
	v_pk_mul_f32 v[146:147], v[4:5], v[146:147]                // 000000005604: D3B14092 18032504
	v_mov_b32_e32 v4, v45                                      // 00000000560C: 7E08032D
	v_mov_b32_e32 v5, v4                                       // 000000005610: 7E0A0304
	v_pk_mul_f32 v[112:113], v[4:5], v[112:113]                // 000000005614: D3B14070 1802E104
	v_pk_mul_f32 v[148:149], v[4:5], v[148:149]                // 00000000561C: D3B14094 18032904
	v_pk_mul_f32 v[114:115], v[4:5], v[114:115]                // 000000005624: D3B14072 1802E504
	v_pk_mul_f32 v[150:151], v[4:5], v[150:151]                // 00000000562C: D3B14096 18032D04
	v_mov_b32_e32 v4, v46                                      // 000000005634: 7E08032E
	v_mov_b32_e32 v5, v4                                       // 000000005638: 7E0A0304
	v_pk_mul_f32 v[116:117], v[4:5], v[116:117]                // 00000000563C: D3B14074 1802E904
	v_pk_mul_f32 v[152:153], v[4:5], v[152:153]                // 000000005644: D3B14098 18033104
	v_pk_mul_f32 v[118:119], v[4:5], v[118:119]                // 00000000564C: D3B14076 1802ED04
	v_pk_mul_f32 v[154:155], v[4:5], v[154:155]                // 000000005654: D3B1409A 18033504
	v_mov_b32_e32 v4, v47                                      // 00000000565C: 7E08032F
	v_mov_b32_e32 v5, v4                                       // 000000005660: 7E0A0304
	v_pk_mul_f32 v[120:121], v[4:5], v[120:121]                // 000000005664: D3B14078 1802F104
	v_pk_mul_f32 v[156:157], v[4:5], v[156:157]                // 00000000566C: D3B1409C 18033904
	v_pk_mul_f32 v[122:123], v[4:5], v[122:123]                // 000000005674: D3B1407A 1802F504
	v_pk_mul_f32 v[158:159], v[4:5], v[158:159]                // 00000000567C: D3B1409E 18033D04
	s_cmp_eq_u32 s88, 0                                        // 000000005684: BF068058
	s_cbranch_scc0 label_11CE                                  // 000000005688: BF8406AB
	s_cmp_eq_u32 s89, 0                                        // 00000000568C: BF068059
	s_cbranch_scc1 label_0C92                                  // 000000005690: BF85016D
	v_mov_b32_e32 v8, v1                                       // 000000005694: 7E100301
	v_mov_b32_e32 v9, v1                                       // 000000005698: 7E120301
	s_mov_b32 s60, s6                                          // 00000000569C: BEBC0006
	s_mov_b32 s61, s6                                          // 0000000056A0: BEBD0006
	v_pk_mul_f32 v[4:5], v[88:89], v[88:89]                    // 0000000056A4: D3B14004 1802B158
	v_pk_mul_f32 v[6:7], v[90:91], v[90:91]                    // 0000000056AC: D3B14006 1802B55A
	v_pk_fma_f32 v[4:5], v[4:5], s[78:79], v[8:9]              // 0000000056B4: D3B04004 1C209D04
	v_pk_fma_f32 v[6:7], v[6:7], s[78:79], v[8:9]              // 0000000056BC: D3B04006 1C209D06
	v_pk_mul_f32 v[4:5], v[4:5], v[88:89]                      // 0000000056C4: D3B14004 1802B104
	v_pk_mul_f32 v[6:7], v[6:7], v[90:91]                      // 0000000056CC: D3B14006 1802B506
	v_pk_mul_f32 v[4:5], v[4:5], s[60:61]                      // 0000000056D4: D3B14004 18007904
	v_pk_mul_f32 v[6:7], v[6:7], s[60:61]                      // 0000000056DC: D3B14006 18007906
	v_exp_f32_e32 v4, v4                                       // 0000000056E4: 7E084104
	v_exp_f32_e32 v5, v5                                       // 0000000056E8: 7E0A4105
	v_exp_f32_e32 v6, v6                                       // 0000000056EC: 7E0C4106
	v_exp_f32_e32 v7, v7                                       // 0000000056F0: 7E0E4107
	v_add_f32_e64 v4, v4, 1.0                                  // 0000000056F4: D1010004 0001E504
	v_add_f32_e64 v5, v5, 1.0                                  // 0000000056FC: D1010005 0001E505
	v_add_f32_e64 v6, v6, 1.0                                  // 000000005704: D1010006 0001E506
	v_add_f32_e64 v7, v7, 1.0                                  // 00000000570C: D1010007 0001E507
	v_rcp_f32_e32 v4, v4                                       // 000000005714: 7E084504
	v_rcp_f32_e32 v5, v5                                       // 000000005718: 7E0A4505
	v_rcp_f32_e32 v6, v6                                       // 00000000571C: 7E0C4506
	v_rcp_f32_e32 v7, v7                                       // 000000005720: 7E0E4507
	v_mul_f32_e32 v88, v88, v4                                 // 000000005724: 0AB00958
	v_mul_f32_e32 v89, v89, v5                                 // 000000005728: 0AB20B59
	v_mul_f32_e32 v90, v90, v6                                 // 00000000572C: 0AB40D5A
	v_mul_f32_e32 v91, v91, v7                                 // 000000005730: 0AB60F5B
	v_mul_f32_e32 v88, v88, v124                               // 000000005734: 0AB0F958
	v_mul_f32_e32 v89, v89, v125                               // 000000005738: 0AB2FB59
	v_mul_f32_e32 v90, v90, v126                               // 00000000573C: 0AB4FD5A
	v_mul_f32_e32 v91, v91, v127                               // 000000005740: 0AB6FF5B
	v_pk_mul_f32 v[4:5], v[92:93], v[92:93]                    // 000000005744: D3B14004 1802B95C
	v_pk_mul_f32 v[6:7], v[94:95], v[94:95]                    // 00000000574C: D3B14006 1802BD5E
	v_pk_fma_f32 v[4:5], v[4:5], s[78:79], v[8:9]              // 000000005754: D3B04004 1C209D04
	v_pk_fma_f32 v[6:7], v[6:7], s[78:79], v[8:9]              // 00000000575C: D3B04006 1C209D06
	v_pk_mul_f32 v[4:5], v[4:5], v[92:93]                      // 000000005764: D3B14004 1802B904
	v_pk_mul_f32 v[6:7], v[6:7], v[94:95]                      // 00000000576C: D3B14006 1802BD06
	v_pk_mul_f32 v[4:5], v[4:5], s[60:61]                      // 000000005774: D3B14004 18007904
	v_pk_mul_f32 v[6:7], v[6:7], s[60:61]                      // 00000000577C: D3B14006 18007906
	v_exp_f32_e32 v4, v4                                       // 000000005784: 7E084104
	v_exp_f32_e32 v5, v5                                       // 000000005788: 7E0A4105
	v_exp_f32_e32 v6, v6                                       // 00000000578C: 7E0C4106
	v_exp_f32_e32 v7, v7                                       // 000000005790: 7E0E4107
	v_add_f32_e64 v4, v4, 1.0                                  // 000000005794: D1010004 0001E504
	v_add_f32_e64 v5, v5, 1.0                                  // 00000000579C: D1010005 0001E505
	v_add_f32_e64 v6, v6, 1.0                                  // 0000000057A4: D1010006 0001E506
	v_add_f32_e64 v7, v7, 1.0                                  // 0000000057AC: D1010007 0001E507
	v_rcp_f32_e32 v4, v4                                       // 0000000057B4: 7E084504
	v_rcp_f32_e32 v5, v5                                       // 0000000057B8: 7E0A4505
	v_rcp_f32_e32 v6, v6                                       // 0000000057BC: 7E0C4506
	v_rcp_f32_e32 v7, v7                                       // 0000000057C0: 7E0E4507
	v_mul_f32_e32 v92, v92, v4                                 // 0000000057C4: 0AB8095C
	v_mul_f32_e32 v93, v93, v5                                 // 0000000057C8: 0ABA0B5D
	v_mul_f32_e32 v94, v94, v6                                 // 0000000057CC: 0ABC0D5E
	v_mul_f32_e32 v95, v95, v7                                 // 0000000057D0: 0ABE0F5F
	v_mul_f32_e32 v92, v92, v128                               // 0000000057D4: 0AB9015C
	v_mul_f32_e32 v93, v93, v129                               // 0000000057D8: 0ABB035D
	v_mul_f32_e32 v94, v94, v130                               // 0000000057DC: 0ABD055E
	v_mul_f32_e32 v95, v95, v131                               // 0000000057E0: 0ABF075F
	v_pk_mul_f32 v[4:5], v[96:97], v[96:97]                    // 0000000057E4: D3B14004 1802C160
	v_pk_mul_f32 v[6:7], v[98:99], v[98:99]                    // 0000000057EC: D3B14006 1802C562
	v_pk_fma_f32 v[4:5], v[4:5], s[78:79], v[8:9]              // 0000000057F4: D3B04004 1C209D04
	v_pk_fma_f32 v[6:7], v[6:7], s[78:79], v[8:9]              // 0000000057FC: D3B04006 1C209D06
	v_pk_mul_f32 v[4:5], v[4:5], v[96:97]                      // 000000005804: D3B14004 1802C104
	v_pk_mul_f32 v[6:7], v[6:7], v[98:99]                      // 00000000580C: D3B14006 1802C506
	v_pk_mul_f32 v[4:5], v[4:5], s[60:61]                      // 000000005814: D3B14004 18007904
	v_pk_mul_f32 v[6:7], v[6:7], s[60:61]                      // 00000000581C: D3B14006 18007906
	v_exp_f32_e32 v4, v4                                       // 000000005824: 7E084104
	v_exp_f32_e32 v5, v5                                       // 000000005828: 7E0A4105
	v_exp_f32_e32 v6, v6                                       // 00000000582C: 7E0C4106
	v_exp_f32_e32 v7, v7                                       // 000000005830: 7E0E4107
	v_add_f32_e64 v4, v4, 1.0                                  // 000000005834: D1010004 0001E504
	v_add_f32_e64 v5, v5, 1.0                                  // 00000000583C: D1010005 0001E505
	v_add_f32_e64 v6, v6, 1.0                                  // 000000005844: D1010006 0001E506
	v_add_f32_e64 v7, v7, 1.0                                  // 00000000584C: D1010007 0001E507
	v_rcp_f32_e32 v4, v4                                       // 000000005854: 7E084504
	v_rcp_f32_e32 v5, v5                                       // 000000005858: 7E0A4505
	v_rcp_f32_e32 v6, v6                                       // 00000000585C: 7E0C4506
	v_rcp_f32_e32 v7, v7                                       // 000000005860: 7E0E4507
	v_mul_f32_e32 v96, v96, v4                                 // 000000005864: 0AC00960
	v_mul_f32_e32 v97, v97, v5                                 // 000000005868: 0AC20B61
	v_mul_f32_e32 v98, v98, v6                                 // 00000000586C: 0AC40D62
	v_mul_f32_e32 v99, v99, v7                                 // 000000005870: 0AC60F63
	v_mul_f32_e32 v96, v96, v132                               // 000000005874: 0AC10960
	v_mul_f32_e32 v97, v97, v133                               // 000000005878: 0AC30B61
	v_mul_f32_e32 v98, v98, v134                               // 00000000587C: 0AC50D62
	v_mul_f32_e32 v99, v99, v135                               // 000000005880: 0AC70F63
	v_pk_mul_f32 v[4:5], v[100:101], v[100:101]                // 000000005884: D3B14004 1802C964
	v_pk_mul_f32 v[6:7], v[102:103], v[102:103]                // 00000000588C: D3B14006 1802CD66
	v_pk_fma_f32 v[4:5], v[4:5], s[78:79], v[8:9]              // 000000005894: D3B04004 1C209D04
	v_pk_fma_f32 v[6:7], v[6:7], s[78:79], v[8:9]              // 00000000589C: D3B04006 1C209D06
	v_pk_mul_f32 v[4:5], v[4:5], v[100:101]                    // 0000000058A4: D3B14004 1802C904
	v_pk_mul_f32 v[6:7], v[6:7], v[102:103]                    // 0000000058AC: D3B14006 1802CD06
	v_pk_mul_f32 v[4:5], v[4:5], s[60:61]                      // 0000000058B4: D3B14004 18007904
	v_pk_mul_f32 v[6:7], v[6:7], s[60:61]                      // 0000000058BC: D3B14006 18007906
	v_exp_f32_e32 v4, v4                                       // 0000000058C4: 7E084104
	v_exp_f32_e32 v5, v5                                       // 0000000058C8: 7E0A4105
	v_exp_f32_e32 v6, v6                                       // 0000000058CC: 7E0C4106
	v_exp_f32_e32 v7, v7                                       // 0000000058D0: 7E0E4107
	v_add_f32_e64 v4, v4, 1.0                                  // 0000000058D4: D1010004 0001E504
	v_add_f32_e64 v5, v5, 1.0                                  // 0000000058DC: D1010005 0001E505
	v_add_f32_e64 v6, v6, 1.0                                  // 0000000058E4: D1010006 0001E506
	v_add_f32_e64 v7, v7, 1.0                                  // 0000000058EC: D1010007 0001E507
	v_rcp_f32_e32 v4, v4                                       // 0000000058F4: 7E084504
	v_rcp_f32_e32 v5, v5                                       // 0000000058F8: 7E0A4505
	v_rcp_f32_e32 v6, v6                                       // 0000000058FC: 7E0C4506
	v_rcp_f32_e32 v7, v7                                       // 000000005900: 7E0E4507
	v_mul_f32_e32 v100, v100, v4                               // 000000005904: 0AC80964
	v_mul_f32_e32 v101, v101, v5                               // 000000005908: 0ACA0B65
	v_mul_f32_e32 v102, v102, v6                               // 00000000590C: 0ACC0D66
	v_mul_f32_e32 v103, v103, v7                               // 000000005910: 0ACE0F67
	v_mul_f32_e32 v100, v100, v136                             // 000000005914: 0AC91164
	v_mul_f32_e32 v101, v101, v137                             // 000000005918: 0ACB1365
	v_mul_f32_e32 v102, v102, v138                             // 00000000591C: 0ACD1566
	v_mul_f32_e32 v103, v103, v139                             // 000000005920: 0ACF1767
	v_pk_mul_f32 v[4:5], v[104:105], v[104:105]                // 000000005924: D3B14004 1802D168
	v_pk_mul_f32 v[6:7], v[106:107], v[106:107]                // 00000000592C: D3B14006 1802D56A
	v_pk_fma_f32 v[4:5], v[4:5], s[78:79], v[8:9]              // 000000005934: D3B04004 1C209D04
	v_pk_fma_f32 v[6:7], v[6:7], s[78:79], v[8:9]              // 00000000593C: D3B04006 1C209D06
	v_pk_mul_f32 v[4:5], v[4:5], v[104:105]                    // 000000005944: D3B14004 1802D104
	v_pk_mul_f32 v[6:7], v[6:7], v[106:107]                    // 00000000594C: D3B14006 1802D506
	v_pk_mul_f32 v[4:5], v[4:5], s[60:61]                      // 000000005954: D3B14004 18007904
	v_pk_mul_f32 v[6:7], v[6:7], s[60:61]                      // 00000000595C: D3B14006 18007906
	v_exp_f32_e32 v4, v4                                       // 000000005964: 7E084104
	v_exp_f32_e32 v5, v5                                       // 000000005968: 7E0A4105
	v_exp_f32_e32 v6, v6                                       // 00000000596C: 7E0C4106
	v_exp_f32_e32 v7, v7                                       // 000000005970: 7E0E4107
	v_add_f32_e64 v4, v4, 1.0                                  // 000000005974: D1010004 0001E504
	v_add_f32_e64 v5, v5, 1.0                                  // 00000000597C: D1010005 0001E505
	v_add_f32_e64 v6, v6, 1.0                                  // 000000005984: D1010006 0001E506
	v_add_f32_e64 v7, v7, 1.0                                  // 00000000598C: D1010007 0001E507
	v_rcp_f32_e32 v4, v4                                       // 000000005994: 7E084504
	v_rcp_f32_e32 v5, v5                                       // 000000005998: 7E0A4505
	v_rcp_f32_e32 v6, v6                                       // 00000000599C: 7E0C4506
	v_rcp_f32_e32 v7, v7                                       // 0000000059A0: 7E0E4507
	v_mul_f32_e32 v104, v104, v4                               // 0000000059A4: 0AD00968
	v_mul_f32_e32 v105, v105, v5                               // 0000000059A8: 0AD20B69
	v_mul_f32_e32 v106, v106, v6                               // 0000000059AC: 0AD40D6A
	v_mul_f32_e32 v107, v107, v7                               // 0000000059B0: 0AD60F6B
	v_mul_f32_e32 v104, v104, v140                             // 0000000059B4: 0AD11968
	v_mul_f32_e32 v105, v105, v141                             // 0000000059B8: 0AD31B69
	v_mul_f32_e32 v106, v106, v142                             // 0000000059BC: 0AD51D6A
	v_mul_f32_e32 v107, v107, v143                             // 0000000059C0: 0AD71F6B
	v_pk_mul_f32 v[4:5], v[108:109], v[108:109]                // 0000000059C4: D3B14004 1802D96C
	v_pk_mul_f32 v[6:7], v[110:111], v[110:111]                // 0000000059CC: D3B14006 1802DD6E
	v_pk_fma_f32 v[4:5], v[4:5], s[78:79], v[8:9]              // 0000000059D4: D3B04004 1C209D04
	v_pk_fma_f32 v[6:7], v[6:7], s[78:79], v[8:9]              // 0000000059DC: D3B04006 1C209D06
	v_pk_mul_f32 v[4:5], v[4:5], v[108:109]                    // 0000000059E4: D3B14004 1802D904
	v_pk_mul_f32 v[6:7], v[6:7], v[110:111]                    // 0000000059EC: D3B14006 1802DD06
	v_pk_mul_f32 v[4:5], v[4:5], s[60:61]                      // 0000000059F4: D3B14004 18007904
	v_pk_mul_f32 v[6:7], v[6:7], s[60:61]                      // 0000000059FC: D3B14006 18007906
	v_exp_f32_e32 v4, v4                                       // 000000005A04: 7E084104
	v_exp_f32_e32 v5, v5                                       // 000000005A08: 7E0A4105
	v_exp_f32_e32 v6, v6                                       // 000000005A0C: 7E0C4106
	v_exp_f32_e32 v7, v7                                       // 000000005A10: 7E0E4107
	v_add_f32_e64 v4, v4, 1.0                                  // 000000005A14: D1010004 0001E504
	v_add_f32_e64 v5, v5, 1.0                                  // 000000005A1C: D1010005 0001E505
	v_add_f32_e64 v6, v6, 1.0                                  // 000000005A24: D1010006 0001E506
	v_add_f32_e64 v7, v7, 1.0                                  // 000000005A2C: D1010007 0001E507
	v_rcp_f32_e32 v4, v4                                       // 000000005A34: 7E084504
	v_rcp_f32_e32 v5, v5                                       // 000000005A38: 7E0A4505
	v_rcp_f32_e32 v6, v6                                       // 000000005A3C: 7E0C4506
	v_rcp_f32_e32 v7, v7                                       // 000000005A40: 7E0E4507
	v_mul_f32_e32 v108, v108, v4                               // 000000005A44: 0AD8096C
	v_mul_f32_e32 v109, v109, v5                               // 000000005A48: 0ADA0B6D
	v_mul_f32_e32 v110, v110, v6                               // 000000005A4C: 0ADC0D6E
	v_mul_f32_e32 v111, v111, v7                               // 000000005A50: 0ADE0F6F
	v_mul_f32_e32 v108, v108, v144                             // 000000005A54: 0AD9216C
	v_mul_f32_e32 v109, v109, v145                             // 000000005A58: 0ADB236D
	v_mul_f32_e32 v110, v110, v146                             // 000000005A5C: 0ADD256E
	v_mul_f32_e32 v111, v111, v147                             // 000000005A60: 0ADF276F
	v_pk_mul_f32 v[4:5], v[112:113], v[112:113]                // 000000005A64: D3B14004 1802E170
	v_pk_mul_f32 v[6:7], v[114:115], v[114:115]                // 000000005A6C: D3B14006 1802E572
	v_pk_fma_f32 v[4:5], v[4:5], s[78:79], v[8:9]              // 000000005A74: D3B04004 1C209D04
	v_pk_fma_f32 v[6:7], v[6:7], s[78:79], v[8:9]              // 000000005A7C: D3B04006 1C209D06
	v_pk_mul_f32 v[4:5], v[4:5], v[112:113]                    // 000000005A84: D3B14004 1802E104
	v_pk_mul_f32 v[6:7], v[6:7], v[114:115]                    // 000000005A8C: D3B14006 1802E506
	v_pk_mul_f32 v[4:5], v[4:5], s[60:61]                      // 000000005A94: D3B14004 18007904
	v_pk_mul_f32 v[6:7], v[6:7], s[60:61]                      // 000000005A9C: D3B14006 18007906
	v_exp_f32_e32 v4, v4                                       // 000000005AA4: 7E084104
	v_exp_f32_e32 v5, v5                                       // 000000005AA8: 7E0A4105
	v_exp_f32_e32 v6, v6                                       // 000000005AAC: 7E0C4106
	v_exp_f32_e32 v7, v7                                       // 000000005AB0: 7E0E4107
	v_add_f32_e64 v4, v4, 1.0                                  // 000000005AB4: D1010004 0001E504
	v_add_f32_e64 v5, v5, 1.0                                  // 000000005ABC: D1010005 0001E505
	v_add_f32_e64 v6, v6, 1.0                                  // 000000005AC4: D1010006 0001E506
	v_add_f32_e64 v7, v7, 1.0                                  // 000000005ACC: D1010007 0001E507
	v_rcp_f32_e32 v4, v4                                       // 000000005AD4: 7E084504
	v_rcp_f32_e32 v5, v5                                       // 000000005AD8: 7E0A4505
	v_rcp_f32_e32 v6, v6                                       // 000000005ADC: 7E0C4506
	v_rcp_f32_e32 v7, v7                                       // 000000005AE0: 7E0E4507
	v_mul_f32_e32 v112, v112, v4                               // 000000005AE4: 0AE00970
	v_mul_f32_e32 v113, v113, v5                               // 000000005AE8: 0AE20B71
	v_mul_f32_e32 v114, v114, v6                               // 000000005AEC: 0AE40D72
	v_mul_f32_e32 v115, v115, v7                               // 000000005AF0: 0AE60F73
	v_mul_f32_e32 v112, v112, v148                             // 000000005AF4: 0AE12970
	v_mul_f32_e32 v113, v113, v149                             // 000000005AF8: 0AE32B71
	v_mul_f32_e32 v114, v114, v150                             // 000000005AFC: 0AE52D72
	v_mul_f32_e32 v115, v115, v151                             // 000000005B00: 0AE72F73
	v_pk_mul_f32 v[4:5], v[116:117], v[116:117]                // 000000005B04: D3B14004 1802E974
	v_pk_mul_f32 v[6:7], v[118:119], v[118:119]                // 000000005B0C: D3B14006 1802ED76
	v_pk_fma_f32 v[4:5], v[4:5], s[78:79], v[8:9]              // 000000005B14: D3B04004 1C209D04
	v_pk_fma_f32 v[6:7], v[6:7], s[78:79], v[8:9]              // 000000005B1C: D3B04006 1C209D06
	v_pk_mul_f32 v[4:5], v[4:5], v[116:117]                    // 000000005B24: D3B14004 1802E904
	v_pk_mul_f32 v[6:7], v[6:7], v[118:119]                    // 000000005B2C: D3B14006 1802ED06
	v_pk_mul_f32 v[4:5], v[4:5], s[60:61]                      // 000000005B34: D3B14004 18007904
	v_pk_mul_f32 v[6:7], v[6:7], s[60:61]                      // 000000005B3C: D3B14006 18007906
	v_exp_f32_e32 v4, v4                                       // 000000005B44: 7E084104
	v_exp_f32_e32 v5, v5                                       // 000000005B48: 7E0A4105
	v_exp_f32_e32 v6, v6                                       // 000000005B4C: 7E0C4106
	v_exp_f32_e32 v7, v7                                       // 000000005B50: 7E0E4107
	v_add_f32_e64 v4, v4, 1.0                                  // 000000005B54: D1010004 0001E504
	v_add_f32_e64 v5, v5, 1.0                                  // 000000005B5C: D1010005 0001E505
	v_add_f32_e64 v6, v6, 1.0                                  // 000000005B64: D1010006 0001E506
	v_add_f32_e64 v7, v7, 1.0                                  // 000000005B6C: D1010007 0001E507
	v_rcp_f32_e32 v4, v4                                       // 000000005B74: 7E084504
	v_rcp_f32_e32 v5, v5                                       // 000000005B78: 7E0A4505
	v_rcp_f32_e32 v6, v6                                       // 000000005B7C: 7E0C4506
	v_rcp_f32_e32 v7, v7                                       // 000000005B80: 7E0E4507
	v_mul_f32_e32 v116, v116, v4                               // 000000005B84: 0AE80974
	v_mul_f32_e32 v117, v117, v5                               // 000000005B88: 0AEA0B75
	v_mul_f32_e32 v118, v118, v6                               // 000000005B8C: 0AEC0D76
	v_mul_f32_e32 v119, v119, v7                               // 000000005B90: 0AEE0F77
	v_mul_f32_e32 v116, v116, v152                             // 000000005B94: 0AE93174
	v_mul_f32_e32 v117, v117, v153                             // 000000005B98: 0AEB3375
	v_mul_f32_e32 v118, v118, v154                             // 000000005B9C: 0AED3576
	v_mul_f32_e32 v119, v119, v155                             // 000000005BA0: 0AEF3777
	v_pk_mul_f32 v[4:5], v[120:121], v[120:121]                // 000000005BA4: D3B14004 1802F178
	v_pk_mul_f32 v[6:7], v[122:123], v[122:123]                // 000000005BAC: D3B14006 1802F57A
	v_pk_fma_f32 v[4:5], v[4:5], s[78:79], v[8:9]              // 000000005BB4: D3B04004 1C209D04
	v_pk_fma_f32 v[6:7], v[6:7], s[78:79], v[8:9]              // 000000005BBC: D3B04006 1C209D06
	v_pk_mul_f32 v[4:5], v[4:5], v[120:121]                    // 000000005BC4: D3B14004 1802F104
	v_pk_mul_f32 v[6:7], v[6:7], v[122:123]                    // 000000005BCC: D3B14006 1802F506
	v_pk_mul_f32 v[4:5], v[4:5], s[60:61]                      // 000000005BD4: D3B14004 18007904
	v_pk_mul_f32 v[6:7], v[6:7], s[60:61]                      // 000000005BDC: D3B14006 18007906
	v_exp_f32_e32 v4, v4                                       // 000000005BE4: 7E084104
	v_exp_f32_e32 v5, v5                                       // 000000005BE8: 7E0A4105
	v_exp_f32_e32 v6, v6                                       // 000000005BEC: 7E0C4106
	v_exp_f32_e32 v7, v7                                       // 000000005BF0: 7E0E4107
	v_add_f32_e64 v4, v4, 1.0                                  // 000000005BF4: D1010004 0001E504
	v_add_f32_e64 v5, v5, 1.0                                  // 000000005BFC: D1010005 0001E505
	v_add_f32_e64 v6, v6, 1.0                                  // 000000005C04: D1010006 0001E506
	v_add_f32_e64 v7, v7, 1.0                                  // 000000005C0C: D1010007 0001E507
	v_rcp_f32_e32 v4, v4                                       // 000000005C14: 7E084504
	v_rcp_f32_e32 v5, v5                                       // 000000005C18: 7E0A4505
	v_rcp_f32_e32 v6, v6                                       // 000000005C1C: 7E0C4506
	v_rcp_f32_e32 v7, v7                                       // 000000005C20: 7E0E4507
	v_mul_f32_e32 v120, v120, v4                               // 000000005C24: 0AF00978
	v_mul_f32_e32 v121, v121, v5                               // 000000005C28: 0AF20B79
	v_mul_f32_e32 v122, v122, v6                               // 000000005C2C: 0AF40D7A
	v_mul_f32_e32 v123, v123, v7                               // 000000005C30: 0AF60F7B
	v_mul_f32_e32 v120, v120, v156                             // 000000005C34: 0AF13978
	v_mul_f32_e32 v121, v121, v157                             // 000000005C38: 0AF33B79
	v_mul_f32_e32 v122, v122, v158                             // 000000005C3C: 0AF53D7A
	v_mul_f32_e32 v123, v123, v159                             // 000000005C40: 0AF73F7B
	s_branch label_0DB2                                        // 000000005C44: BF820120

0000000000005c48 <label_0C92>:
	v_mul_f32_e64 v4, -v88, s6                                 // 000000005C48: D1050004 20000D58
	v_mul_f32_e64 v5, -v89, s6                                 // 000000005C50: D1050005 20000D59
	v_mul_f32_e64 v6, -v90, s6                                 // 000000005C58: D1050006 20000D5A
	v_mul_f32_e64 v7, -v91, s6                                 // 000000005C60: D1050007 20000D5B
	v_exp_f32_e32 v4, v4                                       // 000000005C68: 7E084104
	v_exp_f32_e32 v5, v5                                       // 000000005C6C: 7E0A4105
	v_exp_f32_e32 v6, v6                                       // 000000005C70: 7E0C4106
	v_exp_f32_e32 v7, v7                                       // 000000005C74: 7E0E4107
	v_add_f32_e64 v4, v4, 1.0                                  // 000000005C78: D1010004 0001E504
	v_add_f32_e64 v5, v5, 1.0                                  // 000000005C80: D1010005 0001E505
	v_add_f32_e64 v6, v6, 1.0                                  // 000000005C88: D1010006 0001E506
	v_add_f32_e64 v7, v7, 1.0                                  // 000000005C90: D1010007 0001E507
	v_rcp_f32_e32 v4, v4                                       // 000000005C98: 7E084504
	v_rcp_f32_e32 v5, v5                                       // 000000005C9C: 7E0A4505
	v_rcp_f32_e32 v6, v6                                       // 000000005CA0: 7E0C4506
	v_rcp_f32_e32 v7, v7                                       // 000000005CA4: 7E0E4507
	v_mul_f32_e32 v88, v88, v4                                 // 000000005CA8: 0AB00958
	v_mul_f32_e32 v89, v89, v5                                 // 000000005CAC: 0AB20B59
	v_mul_f32_e32 v90, v90, v6                                 // 000000005CB0: 0AB40D5A
	v_mul_f32_e32 v91, v91, v7                                 // 000000005CB4: 0AB60F5B
	v_mul_f32_e32 v88, v88, v124                               // 000000005CB8: 0AB0F958
	v_mul_f32_e32 v89, v89, v125                               // 000000005CBC: 0AB2FB59
	v_mul_f32_e32 v90, v90, v126                               // 000000005CC0: 0AB4FD5A
	v_mul_f32_e32 v91, v91, v127                               // 000000005CC4: 0AB6FF5B
	v_mul_f32_e64 v4, -v92, s6                                 // 000000005CC8: D1050004 20000D5C
	v_mul_f32_e64 v5, -v93, s6                                 // 000000005CD0: D1050005 20000D5D
	v_mul_f32_e64 v6, -v94, s6                                 // 000000005CD8: D1050006 20000D5E
	v_mul_f32_e64 v7, -v95, s6                                 // 000000005CE0: D1050007 20000D5F
	v_exp_f32_e32 v4, v4                                       // 000000005CE8: 7E084104
	v_exp_f32_e32 v5, v5                                       // 000000005CEC: 7E0A4105
	v_exp_f32_e32 v6, v6                                       // 000000005CF0: 7E0C4106
	v_exp_f32_e32 v7, v7                                       // 000000005CF4: 7E0E4107
	v_add_f32_e64 v4, v4, 1.0                                  // 000000005CF8: D1010004 0001E504
	v_add_f32_e64 v5, v5, 1.0                                  // 000000005D00: D1010005 0001E505
	v_add_f32_e64 v6, v6, 1.0                                  // 000000005D08: D1010006 0001E506
	v_add_f32_e64 v7, v7, 1.0                                  // 000000005D10: D1010007 0001E507
	v_rcp_f32_e32 v4, v4                                       // 000000005D18: 7E084504
	v_rcp_f32_e32 v5, v5                                       // 000000005D1C: 7E0A4505
	v_rcp_f32_e32 v6, v6                                       // 000000005D20: 7E0C4506
	v_rcp_f32_e32 v7, v7                                       // 000000005D24: 7E0E4507
	v_mul_f32_e32 v92, v92, v4                                 // 000000005D28: 0AB8095C
	v_mul_f32_e32 v93, v93, v5                                 // 000000005D2C: 0ABA0B5D
	v_mul_f32_e32 v94, v94, v6                                 // 000000005D30: 0ABC0D5E
	v_mul_f32_e32 v95, v95, v7                                 // 000000005D34: 0ABE0F5F
	v_mul_f32_e32 v92, v92, v128                               // 000000005D38: 0AB9015C
	v_mul_f32_e32 v93, v93, v129                               // 000000005D3C: 0ABB035D
	v_mul_f32_e32 v94, v94, v130                               // 000000005D40: 0ABD055E
	v_mul_f32_e32 v95, v95, v131                               // 000000005D44: 0ABF075F
	v_mul_f32_e64 v4, -v96, s6                                 // 000000005D48: D1050004 20000D60
	v_mul_f32_e64 v5, -v97, s6                                 // 000000005D50: D1050005 20000D61
	v_mul_f32_e64 v6, -v98, s6                                 // 000000005D58: D1050006 20000D62
	v_mul_f32_e64 v7, -v99, s6                                 // 000000005D60: D1050007 20000D63
	v_exp_f32_e32 v4, v4                                       // 000000005D68: 7E084104
	v_exp_f32_e32 v5, v5                                       // 000000005D6C: 7E0A4105
	v_exp_f32_e32 v6, v6                                       // 000000005D70: 7E0C4106
	v_exp_f32_e32 v7, v7                                       // 000000005D74: 7E0E4107
	v_add_f32_e64 v4, v4, 1.0                                  // 000000005D78: D1010004 0001E504
	v_add_f32_e64 v5, v5, 1.0                                  // 000000005D80: D1010005 0001E505
	v_add_f32_e64 v6, v6, 1.0                                  // 000000005D88: D1010006 0001E506
	v_add_f32_e64 v7, v7, 1.0                                  // 000000005D90: D1010007 0001E507
	v_rcp_f32_e32 v4, v4                                       // 000000005D98: 7E084504
	v_rcp_f32_e32 v5, v5                                       // 000000005D9C: 7E0A4505
	v_rcp_f32_e32 v6, v6                                       // 000000005DA0: 7E0C4506
	v_rcp_f32_e32 v7, v7                                       // 000000005DA4: 7E0E4507
	v_mul_f32_e32 v96, v96, v4                                 // 000000005DA8: 0AC00960
	v_mul_f32_e32 v97, v97, v5                                 // 000000005DAC: 0AC20B61
	v_mul_f32_e32 v98, v98, v6                                 // 000000005DB0: 0AC40D62
	v_mul_f32_e32 v99, v99, v7                                 // 000000005DB4: 0AC60F63
	v_mul_f32_e32 v96, v96, v132                               // 000000005DB8: 0AC10960
	v_mul_f32_e32 v97, v97, v133                               // 000000005DBC: 0AC30B61
	v_mul_f32_e32 v98, v98, v134                               // 000000005DC0: 0AC50D62
	v_mul_f32_e32 v99, v99, v135                               // 000000005DC4: 0AC70F63
	v_mul_f32_e64 v4, -v100, s6                                // 000000005DC8: D1050004 20000D64
	v_mul_f32_e64 v5, -v101, s6                                // 000000005DD0: D1050005 20000D65
	v_mul_f32_e64 v6, -v102, s6                                // 000000005DD8: D1050006 20000D66
	v_mul_f32_e64 v7, -v103, s6                                // 000000005DE0: D1050007 20000D67
	v_exp_f32_e32 v4, v4                                       // 000000005DE8: 7E084104
	v_exp_f32_e32 v5, v5                                       // 000000005DEC: 7E0A4105
	v_exp_f32_e32 v6, v6                                       // 000000005DF0: 7E0C4106
	v_exp_f32_e32 v7, v7                                       // 000000005DF4: 7E0E4107
	v_add_f32_e64 v4, v4, 1.0                                  // 000000005DF8: D1010004 0001E504
	v_add_f32_e64 v5, v5, 1.0                                  // 000000005E00: D1010005 0001E505
	v_add_f32_e64 v6, v6, 1.0                                  // 000000005E08: D1010006 0001E506
	v_add_f32_e64 v7, v7, 1.0                                  // 000000005E10: D1010007 0001E507
	v_rcp_f32_e32 v4, v4                                       // 000000005E18: 7E084504
	v_rcp_f32_e32 v5, v5                                       // 000000005E1C: 7E0A4505
	v_rcp_f32_e32 v6, v6                                       // 000000005E20: 7E0C4506
	v_rcp_f32_e32 v7, v7                                       // 000000005E24: 7E0E4507
	v_mul_f32_e32 v100, v100, v4                               // 000000005E28: 0AC80964
	v_mul_f32_e32 v101, v101, v5                               // 000000005E2C: 0ACA0B65
	v_mul_f32_e32 v102, v102, v6                               // 000000005E30: 0ACC0D66
	v_mul_f32_e32 v103, v103, v7                               // 000000005E34: 0ACE0F67
	v_mul_f32_e32 v100, v100, v136                             // 000000005E38: 0AC91164
	v_mul_f32_e32 v101, v101, v137                             // 000000005E3C: 0ACB1365
	v_mul_f32_e32 v102, v102, v138                             // 000000005E40: 0ACD1566
	v_mul_f32_e32 v103, v103, v139                             // 000000005E44: 0ACF1767
	v_mul_f32_e64 v4, -v104, s6                                // 000000005E48: D1050004 20000D68
	v_mul_f32_e64 v5, -v105, s6                                // 000000005E50: D1050005 20000D69
	v_mul_f32_e64 v6, -v106, s6                                // 000000005E58: D1050006 20000D6A
	v_mul_f32_e64 v7, -v107, s6                                // 000000005E60: D1050007 20000D6B
	v_exp_f32_e32 v4, v4                                       // 000000005E68: 7E084104
	v_exp_f32_e32 v5, v5                                       // 000000005E6C: 7E0A4105
	v_exp_f32_e32 v6, v6                                       // 000000005E70: 7E0C4106
	v_exp_f32_e32 v7, v7                                       // 000000005E74: 7E0E4107
	v_add_f32_e64 v4, v4, 1.0                                  // 000000005E78: D1010004 0001E504
	v_add_f32_e64 v5, v5, 1.0                                  // 000000005E80: D1010005 0001E505
	v_add_f32_e64 v6, v6, 1.0                                  // 000000005E88: D1010006 0001E506
	v_add_f32_e64 v7, v7, 1.0                                  // 000000005E90: D1010007 0001E507
	v_rcp_f32_e32 v4, v4                                       // 000000005E98: 7E084504
	v_rcp_f32_e32 v5, v5                                       // 000000005E9C: 7E0A4505
	v_rcp_f32_e32 v6, v6                                       // 000000005EA0: 7E0C4506
	v_rcp_f32_e32 v7, v7                                       // 000000005EA4: 7E0E4507
	v_mul_f32_e32 v104, v104, v4                               // 000000005EA8: 0AD00968
	v_mul_f32_e32 v105, v105, v5                               // 000000005EAC: 0AD20B69
	v_mul_f32_e32 v106, v106, v6                               // 000000005EB0: 0AD40D6A
	v_mul_f32_e32 v107, v107, v7                               // 000000005EB4: 0AD60F6B
	v_mul_f32_e32 v104, v104, v140                             // 000000005EB8: 0AD11968
	v_mul_f32_e32 v105, v105, v141                             // 000000005EBC: 0AD31B69
	v_mul_f32_e32 v106, v106, v142                             // 000000005EC0: 0AD51D6A
	v_mul_f32_e32 v107, v107, v143                             // 000000005EC4: 0AD71F6B
	v_mul_f32_e64 v4, -v108, s6                                // 000000005EC8: D1050004 20000D6C
	v_mul_f32_e64 v5, -v109, s6                                // 000000005ED0: D1050005 20000D6D
	v_mul_f32_e64 v6, -v110, s6                                // 000000005ED8: D1050006 20000D6E
	v_mul_f32_e64 v7, -v111, s6                                // 000000005EE0: D1050007 20000D6F
	v_exp_f32_e32 v4, v4                                       // 000000005EE8: 7E084104
	v_exp_f32_e32 v5, v5                                       // 000000005EEC: 7E0A4105
	v_exp_f32_e32 v6, v6                                       // 000000005EF0: 7E0C4106
	v_exp_f32_e32 v7, v7                                       // 000000005EF4: 7E0E4107
	v_add_f32_e64 v4, v4, 1.0                                  // 000000005EF8: D1010004 0001E504
	v_add_f32_e64 v5, v5, 1.0                                  // 000000005F00: D1010005 0001E505
	v_add_f32_e64 v6, v6, 1.0                                  // 000000005F08: D1010006 0001E506
	v_add_f32_e64 v7, v7, 1.0                                  // 000000005F10: D1010007 0001E507
	v_rcp_f32_e32 v4, v4                                       // 000000005F18: 7E084504
	v_rcp_f32_e32 v5, v5                                       // 000000005F1C: 7E0A4505
	v_rcp_f32_e32 v6, v6                                       // 000000005F20: 7E0C4506
	v_rcp_f32_e32 v7, v7                                       // 000000005F24: 7E0E4507
	v_mul_f32_e32 v108, v108, v4                               // 000000005F28: 0AD8096C
	v_mul_f32_e32 v109, v109, v5                               // 000000005F2C: 0ADA0B6D
	v_mul_f32_e32 v110, v110, v6                               // 000000005F30: 0ADC0D6E
	v_mul_f32_e32 v111, v111, v7                               // 000000005F34: 0ADE0F6F
	v_mul_f32_e32 v108, v108, v144                             // 000000005F38: 0AD9216C
	v_mul_f32_e32 v109, v109, v145                             // 000000005F3C: 0ADB236D
	v_mul_f32_e32 v110, v110, v146                             // 000000005F40: 0ADD256E
	v_mul_f32_e32 v111, v111, v147                             // 000000005F44: 0ADF276F
	v_mul_f32_e64 v4, -v112, s6                                // 000000005F48: D1050004 20000D70
	v_mul_f32_e64 v5, -v113, s6                                // 000000005F50: D1050005 20000D71
	v_mul_f32_e64 v6, -v114, s6                                // 000000005F58: D1050006 20000D72
	v_mul_f32_e64 v7, -v115, s6                                // 000000005F60: D1050007 20000D73
	v_exp_f32_e32 v4, v4                                       // 000000005F68: 7E084104
	v_exp_f32_e32 v5, v5                                       // 000000005F6C: 7E0A4105
	v_exp_f32_e32 v6, v6                                       // 000000005F70: 7E0C4106
	v_exp_f32_e32 v7, v7                                       // 000000005F74: 7E0E4107
	v_add_f32_e64 v4, v4, 1.0                                  // 000000005F78: D1010004 0001E504
	v_add_f32_e64 v5, v5, 1.0                                  // 000000005F80: D1010005 0001E505
	v_add_f32_e64 v6, v6, 1.0                                  // 000000005F88: D1010006 0001E506
	v_add_f32_e64 v7, v7, 1.0                                  // 000000005F90: D1010007 0001E507
	v_rcp_f32_e32 v4, v4                                       // 000000005F98: 7E084504
	v_rcp_f32_e32 v5, v5                                       // 000000005F9C: 7E0A4505
	v_rcp_f32_e32 v6, v6                                       // 000000005FA0: 7E0C4506
	v_rcp_f32_e32 v7, v7                                       // 000000005FA4: 7E0E4507
	v_mul_f32_e32 v112, v112, v4                               // 000000005FA8: 0AE00970
	v_mul_f32_e32 v113, v113, v5                               // 000000005FAC: 0AE20B71
	v_mul_f32_e32 v114, v114, v6                               // 000000005FB0: 0AE40D72
	v_mul_f32_e32 v115, v115, v7                               // 000000005FB4: 0AE60F73
	v_mul_f32_e32 v112, v112, v148                             // 000000005FB8: 0AE12970
	v_mul_f32_e32 v113, v113, v149                             // 000000005FBC: 0AE32B71
	v_mul_f32_e32 v114, v114, v150                             // 000000005FC0: 0AE52D72
	v_mul_f32_e32 v115, v115, v151                             // 000000005FC4: 0AE72F73
	v_mul_f32_e64 v4, -v116, s6                                // 000000005FC8: D1050004 20000D74
	v_mul_f32_e64 v5, -v117, s6                                // 000000005FD0: D1050005 20000D75
	v_mul_f32_e64 v6, -v118, s6                                // 000000005FD8: D1050006 20000D76
	v_mul_f32_e64 v7, -v119, s6                                // 000000005FE0: D1050007 20000D77
	v_exp_f32_e32 v4, v4                                       // 000000005FE8: 7E084104
	v_exp_f32_e32 v5, v5                                       // 000000005FEC: 7E0A4105
	v_exp_f32_e32 v6, v6                                       // 000000005FF0: 7E0C4106
	v_exp_f32_e32 v7, v7                                       // 000000005FF4: 7E0E4107
	v_add_f32_e64 v4, v4, 1.0                                  // 000000005FF8: D1010004 0001E504
	v_add_f32_e64 v5, v5, 1.0                                  // 000000006000: D1010005 0001E505
	v_add_f32_e64 v6, v6, 1.0                                  // 000000006008: D1010006 0001E506
	v_add_f32_e64 v7, v7, 1.0                                  // 000000006010: D1010007 0001E507
	v_rcp_f32_e32 v4, v4                                       // 000000006018: 7E084504
	v_rcp_f32_e32 v5, v5                                       // 00000000601C: 7E0A4505
	v_rcp_f32_e32 v6, v6                                       // 000000006020: 7E0C4506
	v_rcp_f32_e32 v7, v7                                       // 000000006024: 7E0E4507
	v_mul_f32_e32 v116, v116, v4                               // 000000006028: 0AE80974
	v_mul_f32_e32 v117, v117, v5                               // 00000000602C: 0AEA0B75
	v_mul_f32_e32 v118, v118, v6                               // 000000006030: 0AEC0D76
	v_mul_f32_e32 v119, v119, v7                               // 000000006034: 0AEE0F77
	v_mul_f32_e32 v116, v116, v152                             // 000000006038: 0AE93174
	v_mul_f32_e32 v117, v117, v153                             // 00000000603C: 0AEB3375
	v_mul_f32_e32 v118, v118, v154                             // 000000006040: 0AED3576
	v_mul_f32_e32 v119, v119, v155                             // 000000006044: 0AEF3777
	v_mul_f32_e64 v4, -v120, s6                                // 000000006048: D1050004 20000D78
	v_mul_f32_e64 v5, -v121, s6                                // 000000006050: D1050005 20000D79
	v_mul_f32_e64 v6, -v122, s6                                // 000000006058: D1050006 20000D7A
	v_mul_f32_e64 v7, -v123, s6                                // 000000006060: D1050007 20000D7B
	v_exp_f32_e32 v4, v4                                       // 000000006068: 7E084104
	v_exp_f32_e32 v5, v5                                       // 00000000606C: 7E0A4105
	v_exp_f32_e32 v6, v6                                       // 000000006070: 7E0C4106
	v_exp_f32_e32 v7, v7                                       // 000000006074: 7E0E4107
	v_add_f32_e64 v4, v4, 1.0                                  // 000000006078: D1010004 0001E504
	v_add_f32_e64 v5, v5, 1.0                                  // 000000006080: D1010005 0001E505
	v_add_f32_e64 v6, v6, 1.0                                  // 000000006088: D1010006 0001E506
	v_add_f32_e64 v7, v7, 1.0                                  // 000000006090: D1010007 0001E507
	v_rcp_f32_e32 v4, v4                                       // 000000006098: 7E084504
	v_rcp_f32_e32 v5, v5                                       // 00000000609C: 7E0A4505
	v_rcp_f32_e32 v6, v6                                       // 0000000060A0: 7E0C4506
	v_rcp_f32_e32 v7, v7                                       // 0000000060A4: 7E0E4507
	v_mul_f32_e32 v120, v120, v4                               // 0000000060A8: 0AF00978
	v_mul_f32_e32 v121, v121, v5                               // 0000000060AC: 0AF20B79
	v_mul_f32_e32 v122, v122, v6                               // 0000000060B0: 0AF40D7A
	v_mul_f32_e32 v123, v123, v7                               // 0000000060B4: 0AF60F7B
	v_mul_f32_e32 v120, v120, v156                             // 0000000060B8: 0AF13978
	v_mul_f32_e32 v121, v121, v157                             // 0000000060BC: 0AF33B79
	v_mul_f32_e32 v122, v122, v158                             // 0000000060C0: 0AF53D7A
	v_mul_f32_e32 v123, v123, v159                             // 0000000060C4: 0AF73F7B

00000000000060c8 <label_0DB2>:
	v_cmp_u_f32_e64 s[46:47], v88, v88                         // 0000000060C8: D048002E 0002B158
	v_add3_u32 v16, v88, v19, 1                                // 0000000060D0: D1FF0010 02062758
	v_cndmask_b32_e64 v4, v16, v18, s[46:47]                   // 0000000060D8: D1000004 00BA2510
	v_cmp_u_f32_e64 s[46:47], v89, v89                         // 0000000060E0: D048002E 0002B359
	v_add3_u32 v16, v89, v19, 1                                // 0000000060E8: D1FF0010 02062759
	v_cndmask_b32_e64 v5, v16, v18, s[46:47]                   // 0000000060F0: D1000005 00BA2510
	v_perm_b32 v88, v5, v4, s52                                // 0000000060F8: D1ED0058 00D20905
	v_cmp_u_f32_e64 s[46:47], v90, v90                         // 000000006100: D048002E 0002B55A
	v_add3_u32 v16, v90, v19, 1                                // 000000006108: D1FF0010 0206275A
	v_cndmask_b32_e64 v4, v16, v18, s[46:47]                   // 000000006110: D1000004 00BA2510
	v_cmp_u_f32_e64 s[46:47], v91, v91                         // 000000006118: D048002E 0002B75B
	v_add3_u32 v16, v91, v19, 1                                // 000000006120: D1FF0010 0206275B
	v_cndmask_b32_e64 v5, v16, v18, s[46:47]                   // 000000006128: D1000005 00BA2510
	v_perm_b32 v89, v5, v4, s52                                // 000000006130: D1ED0059 00D20905
	v_cmp_u_f32_e64 s[46:47], v92, v92                         // 000000006138: D048002E 0002B95C
	v_add3_u32 v16, v92, v19, 1                                // 000000006140: D1FF0010 0206275C
	v_cndmask_b32_e64 v4, v16, v18, s[46:47]                   // 000000006148: D1000004 00BA2510
	v_cmp_u_f32_e64 s[46:47], v93, v93                         // 000000006150: D048002E 0002BB5D
	v_add3_u32 v16, v93, v19, 1                                // 000000006158: D1FF0010 0206275D
	v_cndmask_b32_e64 v5, v16, v18, s[46:47]                   // 000000006160: D1000005 00BA2510
	v_perm_b32 v90, v5, v4, s52                                // 000000006168: D1ED005A 00D20905
	v_cmp_u_f32_e64 s[46:47], v94, v94                         // 000000006170: D048002E 0002BD5E
	v_add3_u32 v16, v94, v19, 1                                // 000000006178: D1FF0010 0206275E
	v_cndmask_b32_e64 v4, v16, v18, s[46:47]                   // 000000006180: D1000004 00BA2510
	v_cmp_u_f32_e64 s[46:47], v95, v95                         // 000000006188: D048002E 0002BF5F
	v_add3_u32 v16, v95, v19, 1                                // 000000006190: D1FF0010 0206275F
	v_cndmask_b32_e64 v5, v16, v18, s[46:47]                   // 000000006198: D1000005 00BA2510
	v_perm_b32 v91, v5, v4, s52                                // 0000000061A0: D1ED005B 00D20905
	v_cmp_u_f32_e64 s[46:47], v96, v96                         // 0000000061A8: D048002E 0002C160
	v_add3_u32 v16, v96, v19, 1                                // 0000000061B0: D1FF0010 02062760
	v_cndmask_b32_e64 v4, v16, v18, s[46:47]                   // 0000000061B8: D1000004 00BA2510
	v_cmp_u_f32_e64 s[46:47], v97, v97                         // 0000000061C0: D048002E 0002C361
	v_add3_u32 v16, v97, v19, 1                                // 0000000061C8: D1FF0010 02062761
	v_cndmask_b32_e64 v5, v16, v18, s[46:47]                   // 0000000061D0: D1000005 00BA2510
	v_perm_b32 v92, v5, v4, s52                                // 0000000061D8: D1ED005C 00D20905
	v_cmp_u_f32_e64 s[46:47], v98, v98                         // 0000000061E0: D048002E 0002C562
	v_add3_u32 v16, v98, v19, 1                                // 0000000061E8: D1FF0010 02062762
	v_cndmask_b32_e64 v4, v16, v18, s[46:47]                   // 0000000061F0: D1000004 00BA2510
	v_cmp_u_f32_e64 s[46:47], v99, v99                         // 0000000061F8: D048002E 0002C763
	v_add3_u32 v16, v99, v19, 1                                // 000000006200: D1FF0010 02062763
	v_cndmask_b32_e64 v5, v16, v18, s[46:47]                   // 000000006208: D1000005 00BA2510
	v_perm_b32 v93, v5, v4, s52                                // 000000006210: D1ED005D 00D20905
	v_cmp_u_f32_e64 s[46:47], v100, v100                       // 000000006218: D048002E 0002C964
	v_add3_u32 v16, v100, v19, 1                               // 000000006220: D1FF0010 02062764
	v_cndmask_b32_e64 v4, v16, v18, s[46:47]                   // 000000006228: D1000004 00BA2510
	v_cmp_u_f32_e64 s[46:47], v101, v101                       // 000000006230: D048002E 0002CB65
	v_add3_u32 v16, v101, v19, 1                               // 000000006238: D1FF0010 02062765
	v_cndmask_b32_e64 v5, v16, v18, s[46:47]                   // 000000006240: D1000005 00BA2510
	v_perm_b32 v94, v5, v4, s52                                // 000000006248: D1ED005E 00D20905
	v_cmp_u_f32_e64 s[46:47], v102, v102                       // 000000006250: D048002E 0002CD66
	v_add3_u32 v16, v102, v19, 1                               // 000000006258: D1FF0010 02062766
	v_cndmask_b32_e64 v4, v16, v18, s[46:47]                   // 000000006260: D1000004 00BA2510
	v_cmp_u_f32_e64 s[46:47], v103, v103                       // 000000006268: D048002E 0002CF67
	v_add3_u32 v16, v103, v19, 1                               // 000000006270: D1FF0010 02062767
	v_cndmask_b32_e64 v5, v16, v18, s[46:47]                   // 000000006278: D1000005 00BA2510
	v_perm_b32 v95, v5, v4, s52                                // 000000006280: D1ED005F 00D20905
	v_cmp_u_f32_e64 s[46:47], v104, v104                       // 000000006288: D048002E 0002D168
	v_add3_u32 v16, v104, v19, 1                               // 000000006290: D1FF0010 02062768
	v_cndmask_b32_e64 v4, v16, v18, s[46:47]                   // 000000006298: D1000004 00BA2510
	v_cmp_u_f32_e64 s[46:47], v105, v105                       // 0000000062A0: D048002E 0002D369
	v_add3_u32 v16, v105, v19, 1                               // 0000000062A8: D1FF0010 02062769
	v_cndmask_b32_e64 v5, v16, v18, s[46:47]                   // 0000000062B0: D1000005 00BA2510
	v_perm_b32 v96, v5, v4, s52                                // 0000000062B8: D1ED0060 00D20905
	v_cmp_u_f32_e64 s[46:47], v106, v106                       // 0000000062C0: D048002E 0002D56A
	v_add3_u32 v16, v106, v19, 1                               // 0000000062C8: D1FF0010 0206276A
	v_cndmask_b32_e64 v4, v16, v18, s[46:47]                   // 0000000062D0: D1000004 00BA2510
	v_cmp_u_f32_e64 s[46:47], v107, v107                       // 0000000062D8: D048002E 0002D76B
	v_add3_u32 v16, v107, v19, 1                               // 0000000062E0: D1FF0010 0206276B
	v_cndmask_b32_e64 v5, v16, v18, s[46:47]                   // 0000000062E8: D1000005 00BA2510
	v_perm_b32 v97, v5, v4, s52                                // 0000000062F0: D1ED0061 00D20905
	v_cmp_u_f32_e64 s[46:47], v108, v108                       // 0000000062F8: D048002E 0002D96C
	v_add3_u32 v16, v108, v19, 1                               // 000000006300: D1FF0010 0206276C
	v_cndmask_b32_e64 v4, v16, v18, s[46:47]                   // 000000006308: D1000004 00BA2510
	v_cmp_u_f32_e64 s[46:47], v109, v109                       // 000000006310: D048002E 0002DB6D
	v_add3_u32 v16, v109, v19, 1                               // 000000006318: D1FF0010 0206276D
	v_cndmask_b32_e64 v5, v16, v18, s[46:47]                   // 000000006320: D1000005 00BA2510
	v_perm_b32 v98, v5, v4, s52                                // 000000006328: D1ED0062 00D20905
	v_cmp_u_f32_e64 s[46:47], v110, v110                       // 000000006330: D048002E 0002DD6E
	v_add3_u32 v16, v110, v19, 1                               // 000000006338: D1FF0010 0206276E
	v_cndmask_b32_e64 v4, v16, v18, s[46:47]                   // 000000006340: D1000004 00BA2510
	v_cmp_u_f32_e64 s[46:47], v111, v111                       // 000000006348: D048002E 0002DF6F
	v_add3_u32 v16, v111, v19, 1                               // 000000006350: D1FF0010 0206276F
	v_cndmask_b32_e64 v5, v16, v18, s[46:47]                   // 000000006358: D1000005 00BA2510
	v_perm_b32 v99, v5, v4, s52                                // 000000006360: D1ED0063 00D20905
	v_cmp_u_f32_e64 s[46:47], v112, v112                       // 000000006368: D048002E 0002E170
	v_add3_u32 v16, v112, v19, 1                               // 000000006370: D1FF0010 02062770
	v_cndmask_b32_e64 v4, v16, v18, s[46:47]                   // 000000006378: D1000004 00BA2510
	v_cmp_u_f32_e64 s[46:47], v113, v113                       // 000000006380: D048002E 0002E371
	v_add3_u32 v16, v113, v19, 1                               // 000000006388: D1FF0010 02062771
	v_cndmask_b32_e64 v5, v16, v18, s[46:47]                   // 000000006390: D1000005 00BA2510
	v_perm_b32 v100, v5, v4, s52                               // 000000006398: D1ED0064 00D20905
	v_cmp_u_f32_e64 s[46:47], v114, v114                       // 0000000063A0: D048002E 0002E572
	v_add3_u32 v16, v114, v19, 1                               // 0000000063A8: D1FF0010 02062772
	v_cndmask_b32_e64 v4, v16, v18, s[46:47]                   // 0000000063B0: D1000004 00BA2510
	v_cmp_u_f32_e64 s[46:47], v115, v115                       // 0000000063B8: D048002E 0002E773
	v_add3_u32 v16, v115, v19, 1                               // 0000000063C0: D1FF0010 02062773
	v_cndmask_b32_e64 v5, v16, v18, s[46:47]                   // 0000000063C8: D1000005 00BA2510
	v_perm_b32 v101, v5, v4, s52                               // 0000000063D0: D1ED0065 00D20905
	v_cmp_u_f32_e64 s[46:47], v116, v116                       // 0000000063D8: D048002E 0002E974
	v_add3_u32 v16, v116, v19, 1                               // 0000000063E0: D1FF0010 02062774
	v_cndmask_b32_e64 v4, v16, v18, s[46:47]                   // 0000000063E8: D1000004 00BA2510
	v_cmp_u_f32_e64 s[46:47], v117, v117                       // 0000000063F0: D048002E 0002EB75
	v_add3_u32 v16, v117, v19, 1                               // 0000000063F8: D1FF0010 02062775
	v_cndmask_b32_e64 v5, v16, v18, s[46:47]                   // 000000006400: D1000005 00BA2510
	v_perm_b32 v102, v5, v4, s52                               // 000000006408: D1ED0066 00D20905
	v_cmp_u_f32_e64 s[46:47], v118, v118                       // 000000006410: D048002E 0002ED76
	v_add3_u32 v16, v118, v19, 1                               // 000000006418: D1FF0010 02062776
	v_cndmask_b32_e64 v4, v16, v18, s[46:47]                   // 000000006420: D1000004 00BA2510
	v_cmp_u_f32_e64 s[46:47], v119, v119                       // 000000006428: D048002E 0002EF77
	v_add3_u32 v16, v119, v19, 1                               // 000000006430: D1FF0010 02062777
	v_cndmask_b32_e64 v5, v16, v18, s[46:47]                   // 000000006438: D1000005 00BA2510
	v_perm_b32 v103, v5, v4, s52                               // 000000006440: D1ED0067 00D20905
	v_cmp_u_f32_e64 s[46:47], v120, v120                       // 000000006448: D048002E 0002F178
	v_add3_u32 v16, v120, v19, 1                               // 000000006450: D1FF0010 02062778
	v_cndmask_b32_e64 v4, v16, v18, s[46:47]                   // 000000006458: D1000004 00BA2510
	v_cmp_u_f32_e64 s[46:47], v121, v121                       // 000000006460: D048002E 0002F379
	v_add3_u32 v16, v121, v19, 1                               // 000000006468: D1FF0010 02062779
	v_cndmask_b32_e64 v5, v16, v18, s[46:47]                   // 000000006470: D1000005 00BA2510
	v_perm_b32 v104, v5, v4, s52                               // 000000006478: D1ED0068 00D20905
	v_cmp_u_f32_e64 s[46:47], v122, v122                       // 000000006480: D048002E 0002F57A
	v_add3_u32 v16, v122, v19, 1                               // 000000006488: D1FF0010 0206277A
	v_cndmask_b32_e64 v4, v16, v18, s[46:47]                   // 000000006490: D1000004 00BA2510
	v_cmp_u_f32_e64 s[46:47], v123, v123                       // 000000006498: D048002E 0002F77B
	v_add3_u32 v16, v123, v19, 1                               // 0000000064A0: D1FF0010 0206277B
	v_cndmask_b32_e64 v5, v16, v18, s[46:47]                   // 0000000064A8: D1000005 00BA2510
	v_perm_b32 v105, v5, v4, s52                               // 0000000064B0: D1ED0069 00D20905
	ds_write_b64 v20, v[88:89]                                 // 0000000064B8: D89A0000 00005814
	ds_write_b64 v20, v[90:91] offset:2176                     // 0000000064C0: D89A0880 00005A14
	ds_write_b64 v20, v[92:93] offset:4352                     // 0000000064C8: D89A1100 00005C14
	ds_write_b64 v20, v[94:95] offset:6528                     // 0000000064D0: D89A1980 00005E14
	ds_write_b64 v20, v[96:97] offset:8704                     // 0000000064D8: D89A2200 00006014
	ds_write_b64 v20, v[98:99] offset:10880                    // 0000000064E0: D89A2A80 00006214
	ds_write_b64 v20, v[100:101] offset:13056                  // 0000000064E8: D89A3300 00006414
	ds_write_b64 v20, v[102:103] offset:15232                  // 0000000064F0: D89A3B80 00006614
	ds_write_b64 v20, v[104:105] offset:17408                  // 0000000064F8: D89A4400 00006814
	v_lshrrev_b32_e32 v4, 5, v0                                // 000000006500: 20080085
	v_xor_b32_e32 v5, 1, v4                                    // 000000006504: 2A0A0881
	s_mul_i32 s60, s65, 2                                      // 000000006508: 923C8241
	s_cmp_eq_u32 s88, 0                                        // 00000000650C: BF068058
	s_cselect_b32 s61, 1, 4                                    // 000000006510: 853D8481
	s_mul_i32 s60, s61, s60                                    // 000000006514: 923C3C3D
	v_readlane_b32 s82, v3, 0                                  // 000000006518: D2890052 00010103
	s_lshr_b32 s61, s82, 24                                    // 000000006520: 8F3D9852
	s_and_b32 s82, s82, 0xffffff                               // 000000006524: 8652FF52 00FFFFFF
	s_mul_i32 s82, s82, s71                                    // 00000000652C: 92524752
	s_mul_i32 s61, s60, s61                                    // 000000006530: 923D3D3C
	s_add_u32 s82, s82, s61                                    // 000000006534: 80523D52
	v_mul_lo_u32 v6, v5, s82                                   // 000000006538: D2850006 0000A505
	v_readlane_b32 s82, v3, 1                                  // 000000006540: D2890052 00010303
	s_lshr_b32 s61, s82, 24                                    // 000000006548: 8F3D9852
	s_and_b32 s82, s82, 0xffffff                               // 00000000654C: 8652FF52 00FFFFFF
	s_mul_i32 s82, s82, s71                                    // 000000006554: 92524752
	s_mul_i32 s61, s60, s61                                    // 000000006558: 923D3D3C
	s_add_u32 s82, s82, s61                                    // 00000000655C: 80523D52
	v_mul_lo_u32 v7, v4, s82                                   // 000000006560: D2850007 0000A504
	v_add_u32_e32 v66, v6, v7                                  // 000000006568: 68840F06
	v_readlane_b32 s82, v3, 2                                  // 00000000656C: D2890052 00010503
	s_lshr_b32 s61, s82, 24                                    // 000000006574: 8F3D9852
	s_and_b32 s82, s82, 0xffffff                               // 000000006578: 8652FF52 00FFFFFF
	s_mul_i32 s82, s82, s71                                    // 000000006580: 92524752
	s_mul_i32 s61, s60, s61                                    // 000000006584: 923D3D3C
	s_add_u32 s82, s82, s61                                    // 000000006588: 80523D52
	v_mul_lo_u32 v6, v5, s82                                   // 00000000658C: D2850006 0000A505
	v_readlane_b32 s82, v3, 3                                  // 000000006594: D2890052 00010703
	s_lshr_b32 s61, s82, 24                                    // 00000000659C: 8F3D9852
	s_and_b32 s82, s82, 0xffffff                               // 0000000065A0: 8652FF52 00FFFFFF
	s_mul_i32 s82, s82, s71                                    // 0000000065A8: 92524752
	s_mul_i32 s61, s60, s61                                    // 0000000065AC: 923D3D3C
	s_add_u32 s82, s82, s61                                    // 0000000065B0: 80523D52
	v_mul_lo_u32 v7, v4, s82                                   // 0000000065B4: D2850007 0000A504
	v_add_u32_e32 v67, v6, v7                                  // 0000000065BC: 68860F06
	v_readlane_b32 s82, v3, 4                                  // 0000000065C0: D2890052 00010903
	s_lshr_b32 s61, s82, 24                                    // 0000000065C8: 8F3D9852
	s_and_b32 s82, s82, 0xffffff                               // 0000000065CC: 8652FF52 00FFFFFF
	s_mul_i32 s82, s82, s71                                    // 0000000065D4: 92524752
	s_mul_i32 s61, s60, s61                                    // 0000000065D8: 923D3D3C
	s_add_u32 s82, s82, s61                                    // 0000000065DC: 80523D52
	v_mul_lo_u32 v6, v5, s82                                   // 0000000065E0: D2850006 0000A505
	v_readlane_b32 s82, v3, 5                                  // 0000000065E8: D2890052 00010B03
	s_lshr_b32 s61, s82, 24                                    // 0000000065F0: 8F3D9852
	s_and_b32 s82, s82, 0xffffff                               // 0000000065F4: 8652FF52 00FFFFFF
	s_mul_i32 s82, s82, s71                                    // 0000000065FC: 92524752
	s_mul_i32 s61, s60, s61                                    // 000000006600: 923D3D3C
	s_add_u32 s82, s82, s61                                    // 000000006604: 80523D52
	v_mul_lo_u32 v7, v4, s82                                   // 000000006608: D2850007 0000A504
	v_add_u32_e32 v68, v6, v7                                  // 000000006610: 68880F06
	v_readlane_b32 s82, v3, 6                                  // 000000006614: D2890052 00010D03
	s_lshr_b32 s61, s82, 24                                    // 00000000661C: 8F3D9852
	s_and_b32 s82, s82, 0xffffff                               // 000000006620: 8652FF52 00FFFFFF
	s_mul_i32 s82, s82, s71                                    // 000000006628: 92524752
	s_mul_i32 s61, s60, s61                                    // 00000000662C: 923D3D3C
	s_add_u32 s82, s82, s61                                    // 000000006630: 80523D52
	v_mul_lo_u32 v6, v5, s82                                   // 000000006634: D2850006 0000A505
	v_readlane_b32 s82, v3, 7                                  // 00000000663C: D2890052 00010F03
	s_lshr_b32 s61, s82, 24                                    // 000000006644: 8F3D9852
	s_and_b32 s82, s82, 0xffffff                               // 000000006648: 8652FF52 00FFFFFF
	s_mul_i32 s82, s82, s71                                    // 000000006650: 92524752
	s_mul_i32 s61, s60, s61                                    // 000000006654: 923D3D3C
	s_add_u32 s82, s82, s61                                    // 000000006658: 80523D52
	v_mul_lo_u32 v7, v4, s82                                   // 00000000665C: D2850007 0000A504
	v_add_u32_e32 v69, v6, v7                                  // 000000006664: 688A0F06
	v_readlane_b32 s82, v3, 8                                  // 000000006668: D2890052 00011103
	s_lshr_b32 s61, s82, 24                                    // 000000006670: 8F3D9852
	s_and_b32 s82, s82, 0xffffff                               // 000000006674: 8652FF52 00FFFFFF
	s_mul_i32 s82, s82, s71                                    // 00000000667C: 92524752
	s_mul_i32 s61, s60, s61                                    // 000000006680: 923D3D3C
	s_add_u32 s82, s82, s61                                    // 000000006684: 80523D52
	v_mul_lo_u32 v6, v5, s82                                   // 000000006688: D2850006 0000A505
	v_readlane_b32 s82, v3, 9                                  // 000000006690: D2890052 00011303
	s_lshr_b32 s61, s82, 24                                    // 000000006698: 8F3D9852
	s_and_b32 s82, s82, 0xffffff                               // 00000000669C: 8652FF52 00FFFFFF
	s_mul_i32 s82, s82, s71                                    // 0000000066A4: 92524752
	s_mul_i32 s61, s60, s61                                    // 0000000066A8: 923D3D3C
	s_add_u32 s82, s82, s61                                    // 0000000066AC: 80523D52
	v_mul_lo_u32 v7, v4, s82                                   // 0000000066B0: D2850007 0000A504
	v_add_u32_e32 v70, v6, v7                                  // 0000000066B8: 688C0F06
	v_readlane_b32 s82, v3, 10                                 // 0000000066BC: D2890052 00011503
	s_lshr_b32 s61, s82, 24                                    // 0000000066C4: 8F3D9852
	s_and_b32 s82, s82, 0xffffff                               // 0000000066C8: 8652FF52 00FFFFFF
	s_mul_i32 s82, s82, s71                                    // 0000000066D0: 92524752
	s_mul_i32 s61, s60, s61                                    // 0000000066D4: 923D3D3C
	s_add_u32 s82, s82, s61                                    // 0000000066D8: 80523D52
	v_mul_lo_u32 v6, v5, s82                                   // 0000000066DC: D2850006 0000A505
	v_readlane_b32 s82, v3, 11                                 // 0000000066E4: D2890052 00011703
	s_lshr_b32 s61, s82, 24                                    // 0000000066EC: 8F3D9852
	s_and_b32 s82, s82, 0xffffff                               // 0000000066F0: 8652FF52 00FFFFFF
	s_mul_i32 s82, s82, s71                                    // 0000000066F8: 92524752
	s_mul_i32 s61, s60, s61                                    // 0000000066FC: 923D3D3C
	s_add_u32 s82, s82, s61                                    // 000000006700: 80523D52
	v_mul_lo_u32 v7, v4, s82                                   // 000000006704: D2850007 0000A504
	v_add_u32_e32 v71, v6, v7                                  // 00000000670C: 688E0F06
	v_readlane_b32 s82, v3, 12                                 // 000000006710: D2890052 00011903
	s_lshr_b32 s61, s82, 24                                    // 000000006718: 8F3D9852
	s_and_b32 s82, s82, 0xffffff                               // 00000000671C: 8652FF52 00FFFFFF
	s_mul_i32 s82, s82, s71                                    // 000000006724: 92524752
	s_mul_i32 s61, s60, s61                                    // 000000006728: 923D3D3C
	s_add_u32 s82, s82, s61                                    // 00000000672C: 80523D52
	v_mul_lo_u32 v6, v5, s82                                   // 000000006730: D2850006 0000A505
	v_readlane_b32 s82, v3, 13                                 // 000000006738: D2890052 00011B03
	s_lshr_b32 s61, s82, 24                                    // 000000006740: 8F3D9852
	s_and_b32 s82, s82, 0xffffff                               // 000000006744: 8652FF52 00FFFFFF
	s_mul_i32 s82, s82, s71                                    // 00000000674C: 92524752
	s_mul_i32 s61, s60, s61                                    // 000000006750: 923D3D3C
	s_add_u32 s82, s82, s61                                    // 000000006754: 80523D52
	v_mul_lo_u32 v7, v4, s82                                   // 000000006758: D2850007 0000A504
	v_add_u32_e32 v72, v6, v7                                  // 000000006760: 68900F06
	v_readlane_b32 s82, v3, 14                                 // 000000006764: D2890052 00011D03
	s_lshr_b32 s61, s82, 24                                    // 00000000676C: 8F3D9852
	s_and_b32 s82, s82, 0xffffff                               // 000000006770: 8652FF52 00FFFFFF
	s_mul_i32 s82, s82, s71                                    // 000000006778: 92524752
	s_mul_i32 s61, s60, s61                                    // 00000000677C: 923D3D3C
	s_add_u32 s82, s82, s61                                    // 000000006780: 80523D52
	v_mul_lo_u32 v6, v5, s82                                   // 000000006784: D2850006 0000A505
	v_readlane_b32 s82, v3, 15                                 // 00000000678C: D2890052 00011F03
	s_lshr_b32 s61, s82, 24                                    // 000000006794: 8F3D9852
	s_and_b32 s82, s82, 0xffffff                               // 000000006798: 8652FF52 00FFFFFF
	s_mul_i32 s82, s82, s71                                    // 0000000067A0: 92524752
	s_mul_i32 s61, s60, s61                                    // 0000000067A4: 923D3D3C
	s_add_u32 s82, s82, s61                                    // 0000000067A8: 80523D52
	v_mul_lo_u32 v7, v4, s82                                   // 0000000067AC: D2850007 0000A504
	v_add_u32_e32 v73, v6, v7                                  // 0000000067B4: 68920F06
	v_readlane_b32 s82, v3, 16                                 // 0000000067B8: D2890052 00012103
	s_lshr_b32 s61, s82, 24                                    // 0000000067C0: 8F3D9852
	s_and_b32 s82, s82, 0xffffff                               // 0000000067C4: 8652FF52 00FFFFFF
	s_mul_i32 s82, s82, s71                                    // 0000000067CC: 92524752
	s_mul_i32 s61, s60, s61                                    // 0000000067D0: 923D3D3C
	s_add_u32 s82, s82, s61                                    // 0000000067D4: 80523D52
	v_mul_lo_u32 v6, v5, s82                                   // 0000000067D8: D2850006 0000A505
	v_readlane_b32 s82, v3, 17                                 // 0000000067E0: D2890052 00012303
	s_lshr_b32 s61, s82, 24                                    // 0000000067E8: 8F3D9852
	s_and_b32 s82, s82, 0xffffff                               // 0000000067EC: 8652FF52 00FFFFFF
	s_mul_i32 s82, s82, s71                                    // 0000000067F4: 92524752
	s_mul_i32 s61, s60, s61                                    // 0000000067F8: 923D3D3C
	s_add_u32 s82, s82, s61                                    // 0000000067FC: 80523D52
	v_mul_lo_u32 v7, v4, s82                                   // 000000006800: D2850007 0000A504
	v_add_u32_e32 v74, v6, v7                                  // 000000006808: 68940F06
	v_readlane_b32 s82, v3, 18                                 // 00000000680C: D2890052 00012503
	s_lshr_b32 s61, s82, 24                                    // 000000006814: 8F3D9852
	s_and_b32 s82, s82, 0xffffff                               // 000000006818: 8652FF52 00FFFFFF
	s_mul_i32 s82, s82, s71                                    // 000000006820: 92524752
	s_mul_i32 s61, s60, s61                                    // 000000006824: 923D3D3C
	s_add_u32 s82, s82, s61                                    // 000000006828: 80523D52
	v_mul_lo_u32 v6, v5, s82                                   // 00000000682C: D2850006 0000A505
	v_readlane_b32 s82, v3, 19                                 // 000000006834: D2890052 00012703
	s_lshr_b32 s61, s82, 24                                    // 00000000683C: 8F3D9852
	s_and_b32 s82, s82, 0xffffff                               // 000000006840: 8652FF52 00FFFFFF
	s_mul_i32 s82, s82, s71                                    // 000000006848: 92524752
	s_mul_i32 s61, s60, s61                                    // 00000000684C: 923D3D3C
	s_add_u32 s82, s82, s61                                    // 000000006850: 80523D52
	v_mul_lo_u32 v7, v4, s82                                   // 000000006854: D2850007 0000A504
	v_add_u32_e32 v75, v6, v7                                  // 00000000685C: 68960F06
	v_readlane_b32 s82, v3, 20                                 // 000000006860: D2890052 00012903
	s_lshr_b32 s61, s82, 24                                    // 000000006868: 8F3D9852
	s_and_b32 s82, s82, 0xffffff                               // 00000000686C: 8652FF52 00FFFFFF
	s_mul_i32 s82, s82, s71                                    // 000000006874: 92524752
	s_mul_i32 s61, s60, s61                                    // 000000006878: 923D3D3C
	s_add_u32 s82, s82, s61                                    // 00000000687C: 80523D52
	v_mul_lo_u32 v6, v5, s82                                   // 000000006880: D2850006 0000A505
	v_readlane_b32 s82, v3, 21                                 // 000000006888: D2890052 00012B03
	s_lshr_b32 s61, s82, 24                                    // 000000006890: 8F3D9852
	s_and_b32 s82, s82, 0xffffff                               // 000000006894: 8652FF52 00FFFFFF
	s_mul_i32 s82, s82, s71                                    // 00000000689C: 92524752
	s_mul_i32 s61, s60, s61                                    // 0000000068A0: 923D3D3C
	s_add_u32 s82, s82, s61                                    // 0000000068A4: 80523D52
	v_mul_lo_u32 v7, v4, s82                                   // 0000000068A8: D2850007 0000A504
	v_add_u32_e32 v76, v6, v7                                  // 0000000068B0: 68980F06
	v_readlane_b32 s82, v3, 22                                 // 0000000068B4: D2890052 00012D03
	s_lshr_b32 s61, s82, 24                                    // 0000000068BC: 8F3D9852
	s_and_b32 s82, s82, 0xffffff                               // 0000000068C0: 8652FF52 00FFFFFF
	s_mul_i32 s82, s82, s71                                    // 0000000068C8: 92524752
	s_mul_i32 s61, s60, s61                                    // 0000000068CC: 923D3D3C
	s_add_u32 s82, s82, s61                                    // 0000000068D0: 80523D52
	v_mul_lo_u32 v6, v5, s82                                   // 0000000068D4: D2850006 0000A505
	v_readlane_b32 s82, v3, 23                                 // 0000000068DC: D2890052 00012F03
	s_lshr_b32 s61, s82, 24                                    // 0000000068E4: 8F3D9852
	s_and_b32 s82, s82, 0xffffff                               // 0000000068E8: 8652FF52 00FFFFFF
	s_mul_i32 s82, s82, s71                                    // 0000000068F0: 92524752
	s_mul_i32 s61, s60, s61                                    // 0000000068F4: 923D3D3C
	s_add_u32 s82, s82, s61                                    // 0000000068F8: 80523D52
	v_mul_lo_u32 v7, v4, s82                                   // 0000000068FC: D2850007 0000A504
	v_add_u32_e32 v77, v6, v7                                  // 000000006904: 689A0F06
	v_readlane_b32 s82, v3, 24                                 // 000000006908: D2890052 00013103
	s_lshr_b32 s61, s82, 24                                    // 000000006910: 8F3D9852
	s_and_b32 s82, s82, 0xffffff                               // 000000006914: 8652FF52 00FFFFFF
	s_mul_i32 s82, s82, s71                                    // 00000000691C: 92524752
	s_mul_i32 s61, s60, s61                                    // 000000006920: 923D3D3C
	s_add_u32 s82, s82, s61                                    // 000000006924: 80523D52
	v_mul_lo_u32 v6, v5, s82                                   // 000000006928: D2850006 0000A505
	v_readlane_b32 s82, v3, 25                                 // 000000006930: D2890052 00013303
	s_lshr_b32 s61, s82, 24                                    // 000000006938: 8F3D9852
	s_and_b32 s82, s82, 0xffffff                               // 00000000693C: 8652FF52 00FFFFFF
	s_mul_i32 s82, s82, s71                                    // 000000006944: 92524752
	s_mul_i32 s61, s60, s61                                    // 000000006948: 923D3D3C
	s_add_u32 s82, s82, s61                                    // 00000000694C: 80523D52
	v_mul_lo_u32 v7, v4, s82                                   // 000000006950: D2850007 0000A504
	v_add_u32_e32 v78, v6, v7                                  // 000000006958: 689C0F06
	v_readlane_b32 s82, v3, 26                                 // 00000000695C: D2890052 00013503
	s_lshr_b32 s61, s82, 24                                    // 000000006964: 8F3D9852
	s_and_b32 s82, s82, 0xffffff                               // 000000006968: 8652FF52 00FFFFFF
	s_mul_i32 s82, s82, s71                                    // 000000006970: 92524752
	s_mul_i32 s61, s60, s61                                    // 000000006974: 923D3D3C
	s_add_u32 s82, s82, s61                                    // 000000006978: 80523D52
	v_mul_lo_u32 v6, v5, s82                                   // 00000000697C: D2850006 0000A505
	v_readlane_b32 s82, v3, 27                                 // 000000006984: D2890052 00013703
	s_lshr_b32 s61, s82, 24                                    // 00000000698C: 8F3D9852
	s_and_b32 s82, s82, 0xffffff                               // 000000006990: 8652FF52 00FFFFFF
	s_mul_i32 s82, s82, s71                                    // 000000006998: 92524752
	s_mul_i32 s61, s60, s61                                    // 00000000699C: 923D3D3C
	s_add_u32 s82, s82, s61                                    // 0000000069A0: 80523D52
	v_mul_lo_u32 v7, v4, s82                                   // 0000000069A4: D2850007 0000A504
	v_add_u32_e32 v79, v6, v7                                  // 0000000069AC: 689E0F06
	v_readlane_b32 s82, v3, 28                                 // 0000000069B0: D2890052 00013903
	s_lshr_b32 s61, s82, 24                                    // 0000000069B8: 8F3D9852
	s_and_b32 s82, s82, 0xffffff                               // 0000000069BC: 8652FF52 00FFFFFF
	s_mul_i32 s82, s82, s71                                    // 0000000069C4: 92524752
	s_mul_i32 s61, s60, s61                                    // 0000000069C8: 923D3D3C
	s_add_u32 s82, s82, s61                                    // 0000000069CC: 80523D52
	v_mul_lo_u32 v6, v5, s82                                   // 0000000069D0: D2850006 0000A505
	v_readlane_b32 s82, v3, 29                                 // 0000000069D8: D2890052 00013B03
	s_lshr_b32 s61, s82, 24                                    // 0000000069E0: 8F3D9852
	s_and_b32 s82, s82, 0xffffff                               // 0000000069E4: 8652FF52 00FFFFFF
	s_mul_i32 s82, s82, s71                                    // 0000000069EC: 92524752
	s_mul_i32 s61, s60, s61                                    // 0000000069F0: 923D3D3C
	s_add_u32 s82, s82, s61                                    // 0000000069F4: 80523D52
	v_mul_lo_u32 v7, v4, s82                                   // 0000000069F8: D2850007 0000A504
	v_add_u32_e32 v80, v6, v7                                  // 000000006A00: 68A00F06
	v_readlane_b32 s82, v3, 30                                 // 000000006A04: D2890052 00013D03
	s_lshr_b32 s61, s82, 24                                    // 000000006A0C: 8F3D9852
	s_and_b32 s82, s82, 0xffffff                               // 000000006A10: 8652FF52 00FFFFFF
	s_mul_i32 s82, s82, s71                                    // 000000006A18: 92524752
	s_mul_i32 s61, s60, s61                                    // 000000006A1C: 923D3D3C
	s_add_u32 s82, s82, s61                                    // 000000006A20: 80523D52
	v_mul_lo_u32 v6, v5, s82                                   // 000000006A24: D2850006 0000A505
	v_readlane_b32 s82, v3, 31                                 // 000000006A2C: D2890052 00013F03
	s_lshr_b32 s61, s82, 24                                    // 000000006A34: 8F3D9852
	s_and_b32 s82, s82, 0xffffff                               // 000000006A38: 8652FF52 00FFFFFF
	s_mul_i32 s82, s82, s71                                    // 000000006A40: 92524752
	s_mul_i32 s61, s60, s61                                    // 000000006A44: 923D3D3C
	s_add_u32 s82, s82, s61                                    // 000000006A48: 80523D52
	v_mul_lo_u32 v7, v4, s82                                   // 000000006A4C: D2850007 0000A504
	v_add_u32_e32 v81, v6, v7                                  // 000000006A54: 68A20F06
	v_readlane_b32 s82, v3, 32                                 // 000000006A58: D2890052 00014103
	s_lshr_b32 s61, s82, 24                                    // 000000006A60: 8F3D9852
	s_and_b32 s82, s82, 0xffffff                               // 000000006A64: 8652FF52 00FFFFFF
	s_mul_i32 s82, s82, s71                                    // 000000006A6C: 92524752
	s_mul_i32 s61, s60, s61                                    // 000000006A70: 923D3D3C
	s_add_u32 s82, s82, s61                                    // 000000006A74: 80523D52
	v_mul_lo_u32 v6, v5, s82                                   // 000000006A78: D2850006 0000A505
	v_readlane_b32 s82, v3, 33                                 // 000000006A80: D2890052 00014303
	s_lshr_b32 s61, s82, 24                                    // 000000006A88: 8F3D9852
	s_and_b32 s82, s82, 0xffffff                               // 000000006A8C: 8652FF52 00FFFFFF
	s_mul_i32 s82, s82, s71                                    // 000000006A94: 92524752
	s_mul_i32 s61, s60, s61                                    // 000000006A98: 923D3D3C
	s_add_u32 s82, s82, s61                                    // 000000006A9C: 80523D52
	v_mul_lo_u32 v7, v4, s82                                   // 000000006AA0: D2850007 0000A504
	v_add_u32_e32 v82, v6, v7                                  // 000000006AA8: 68A40F06
	v_readlane_b32 s82, v3, 34                                 // 000000006AAC: D2890052 00014503
	s_lshr_b32 s61, s82, 24                                    // 000000006AB4: 8F3D9852
	s_and_b32 s82, s82, 0xffffff                               // 000000006AB8: 8652FF52 00FFFFFF
	s_mul_i32 s82, s82, s71                                    // 000000006AC0: 92524752
	s_mul_i32 s61, s60, s61                                    // 000000006AC4: 923D3D3C
	s_add_u32 s82, s82, s61                                    // 000000006AC8: 80523D52
	v_mul_lo_u32 v6, v5, s82                                   // 000000006ACC: D2850006 0000A505
	v_readlane_b32 s82, v3, 35                                 // 000000006AD4: D2890052 00014703
	s_lshr_b32 s61, s82, 24                                    // 000000006ADC: 8F3D9852
	s_and_b32 s82, s82, 0xffffff                               // 000000006AE0: 8652FF52 00FFFFFF
	s_mul_i32 s82, s82, s71                                    // 000000006AE8: 92524752
	s_mul_i32 s61, s60, s61                                    // 000000006AEC: 923D3D3C
	s_add_u32 s82, s82, s61                                    // 000000006AF0: 80523D52
	v_mul_lo_u32 v7, v4, s82                                   // 000000006AF4: D2850007 0000A504
	v_add_u32_e32 v83, v6, v7                                  // 000000006AFC: 68A60F06
	v_and_b32_e32 v4, 31, v0                                   // 000000006B00: 2608009F
	v_lshrrev_b32_e32 v4, 1, v4                                // 000000006B04: 20080881
	s_cmp_eq_u32 s88, 0                                        // 000000006B08: BF068058
	s_cselect_b32 s61, 2, 4                                    // 000000006B0C: 853D8482
	v_mul_lo_u32 v4, v4, s61                                   // 000000006B10: D2850004 00007B04
	v_and_b32_e64 v5, v0, 1                                    // 000000006B18: D1130005 00010300
	v_add_u32_e32 v4, v4, v5                                   // 000000006B20: 68080B04
	v_lshlrev_b32_e32 v4, 2, v4                                // 000000006B24: 24080882
	v_add_u32_e32 v66, v66, v4                                 // 000000006B28: 68840942
	v_add_u32_e32 v67, v67, v4                                 // 000000006B2C: 68860943
	v_add_u32_e32 v68, v68, v4                                 // 000000006B30: 68880944
	v_add_u32_e32 v69, v69, v4                                 // 000000006B34: 688A0945
	v_add_u32_e32 v70, v70, v4                                 // 000000006B38: 688C0946
	v_add_u32_e32 v71, v71, v4                                 // 000000006B3C: 688E0947
	v_add_u32_e32 v72, v72, v4                                 // 000000006B40: 68900948
	v_add_u32_e32 v73, v73, v4                                 // 000000006B44: 68920949
	v_add_u32_e32 v74, v74, v4                                 // 000000006B48: 6894094A
	v_add_u32_e32 v75, v75, v4                                 // 000000006B4C: 6896094B
	v_add_u32_e32 v76, v76, v4                                 // 000000006B50: 6898094C
	v_add_u32_e32 v77, v77, v4                                 // 000000006B54: 689A094D
	v_add_u32_e32 v78, v78, v4                                 // 000000006B58: 689C094E
	v_add_u32_e32 v79, v79, v4                                 // 000000006B5C: 689E094F
	v_add_u32_e32 v80, v80, v4                                 // 000000006B60: 68A00950
	v_add_u32_e32 v81, v81, v4                                 // 000000006B64: 68A20951
	v_add_u32_e32 v82, v82, v4                                 // 000000006B68: 68A40952
	v_add_u32_e32 v83, v83, v4                                 // 000000006B6C: 68A60953
	s_waitcnt lgkmcnt(0)                                       // 000000006B70: BF8CC07F
	s_barrier                                                  // 000000006B74: BF8A0000
	ds_read_b32 v88, v21                                       // 000000006B78: D86C0000 58000015
	ds_read_b32 v89, v21 offset:64                             // 000000006B80: D86C0040 59000015
	ds_read_b32 v90, v21 offset:2176                           // 000000006B88: D86C0880 5A000015
	ds_read_b32 v91, v21 offset:2240                           // 000000006B90: D86C08C0 5B000015
	ds_read_b32 v92, v21 offset:4352                           // 000000006B98: D86C1100 5C000015
	ds_read_b32 v93, v21 offset:4416                           // 000000006BA0: D86C1140 5D000015
	ds_read_b32 v94, v21 offset:6528                           // 000000006BA8: D86C1980 5E000015
	ds_read_b32 v95, v21 offset:6592                           // 000000006BB0: D86C19C0 5F000015
	ds_read_b32 v96, v21 offset:8704                           // 000000006BB8: D86C2200 60000015
	ds_read_b32 v97, v21 offset:8768                           // 000000006BC0: D86C2240 61000015
	ds_read_b32 v98, v21 offset:10880                          // 000000006BC8: D86C2A80 62000015
	ds_read_b32 v99, v21 offset:10944                          // 000000006BD0: D86C2AC0 63000015
	ds_read_b32 v100, v21 offset:13056                         // 000000006BD8: D86C3300 64000015
	ds_read_b32 v101, v21 offset:13120                         // 000000006BE0: D86C3340 65000015
	ds_read_b32 v102, v21 offset:15232                         // 000000006BE8: D86C3B80 66000015
	ds_read_b32 v103, v21 offset:15296                         // 000000006BF0: D86C3BC0 67000015
	ds_read_b32 v104, v21 offset:17408                         // 000000006BF8: D86C4400 68000015
	ds_read_b32 v105, v21 offset:17472                         // 000000006C00: D86C4440 69000015
	s_waitcnt lgkmcnt(0)                                       // 000000006C08: BF8CC07F
	s_mov_b32 s36, -1                                          // 000000006C0C: BEA400C1
	s_mov_b32 s37, -1                                          // 000000006C10: BEA500C1
	v_mov_b32_e32 v7, 0                                        // 000000006C14: 7E0E0280
	s_or_b32 s9, s9, 0x40000                                   // 000000006C18: 8709FF09 00040000
	s_mov_b64 exec, s[36:37]                                   // 000000006C20: BEFE0124
	v_mov_b32_e32 v6, v66                                      // 000000006C24: 7E0C0342
	s_mov_b64 s[60:61], 0                                      // 000000006C28: BEBC0180
	v_readlane_b32 s82, v3, 0                                  // 000000006C2C: D2890052 00010103
	s_and_b32 s82, s82, 0xffffff                               // 000000006C34: 8652FF52 00FFFFFF
	s_cmp_lt_u32 s82, s66                                      // 000000006C3C: BF0A4252
	s_cselect_b32 s20, s36, s60                                // 000000006C40: 85143C24
	v_readlane_b32 s82, v3, 1                                  // 000000006C44: D2890052 00010303
	s_and_b32 s82, s82, 0xffffff                               // 000000006C4C: 8652FF52 00FFFFFF
	s_cmp_lt_u32 s82, s66                                      // 000000006C54: BF0A4252
	s_cselect_b32 s21, s36, s60                                // 000000006C58: 85153C24
	s_mov_b64 exec, s[20:21]                                   // 000000006C5C: BEFE0114
	buffer_store_dword v88, v6, s[8:11], 0 offen               // 000000006C60: E0701000 80025806
	s_mov_b64 exec, s[36:37]                                   // 000000006C68: BEFE0124
	v_mov_b32_e32 v6, v67                                      // 000000006C6C: 7E0C0343
	s_mov_b64 s[60:61], 0                                      // 000000006C70: BEBC0180
	v_readlane_b32 s82, v3, 2                                  // 000000006C74: D2890052 00010503
	s_and_b32 s82, s82, 0xffffff                               // 000000006C7C: 8652FF52 00FFFFFF
	s_cmp_lt_u32 s82, s66                                      // 000000006C84: BF0A4252
	s_cselect_b32 s20, s36, s60                                // 000000006C88: 85143C24
	v_readlane_b32 s82, v3, 3                                  // 000000006C8C: D2890052 00010703
	s_and_b32 s82, s82, 0xffffff                               // 000000006C94: 8652FF52 00FFFFFF
	s_cmp_lt_u32 s82, s66                                      // 000000006C9C: BF0A4252
	s_cselect_b32 s21, s36, s60                                // 000000006CA0: 85153C24
	s_mov_b64 exec, s[20:21]                                   // 000000006CA4: BEFE0114
	buffer_store_dword v89, v6, s[8:11], 0 offen               // 000000006CA8: E0701000 80025906
	s_mov_b64 exec, s[36:37]                                   // 000000006CB0: BEFE0124
	v_mov_b32_e32 v6, v68                                      // 000000006CB4: 7E0C0344
	s_mov_b64 s[60:61], 0                                      // 000000006CB8: BEBC0180
	v_readlane_b32 s82, v3, 4                                  // 000000006CBC: D2890052 00010903
	s_and_b32 s82, s82, 0xffffff                               // 000000006CC4: 8652FF52 00FFFFFF
	s_cmp_lt_u32 s82, s66                                      // 000000006CCC: BF0A4252
	s_cselect_b32 s20, s36, s60                                // 000000006CD0: 85143C24
	v_readlane_b32 s82, v3, 5                                  // 000000006CD4: D2890052 00010B03
	s_and_b32 s82, s82, 0xffffff                               // 000000006CDC: 8652FF52 00FFFFFF
	s_cmp_lt_u32 s82, s66                                      // 000000006CE4: BF0A4252
	s_cselect_b32 s21, s36, s60                                // 000000006CE8: 85153C24
	s_mov_b64 exec, s[20:21]                                   // 000000006CEC: BEFE0114
	buffer_store_dword v90, v6, s[8:11], 0 offen               // 000000006CF0: E0701000 80025A06
	s_mov_b64 exec, s[36:37]                                   // 000000006CF8: BEFE0124
	v_mov_b32_e32 v6, v69                                      // 000000006CFC: 7E0C0345
	s_mov_b64 s[60:61], 0                                      // 000000006D00: BEBC0180
	v_readlane_b32 s82, v3, 6                                  // 000000006D04: D2890052 00010D03
	s_and_b32 s82, s82, 0xffffff                               // 000000006D0C: 8652FF52 00FFFFFF
	s_cmp_lt_u32 s82, s66                                      // 000000006D14: BF0A4252
	s_cselect_b32 s20, s36, s60                                // 000000006D18: 85143C24
	v_readlane_b32 s82, v3, 7                                  // 000000006D1C: D2890052 00010F03
	s_and_b32 s82, s82, 0xffffff                               // 000000006D24: 8652FF52 00FFFFFF
	s_cmp_lt_u32 s82, s66                                      // 000000006D2C: BF0A4252
	s_cselect_b32 s21, s36, s60                                // 000000006D30: 85153C24
	s_mov_b64 exec, s[20:21]                                   // 000000006D34: BEFE0114
	buffer_store_dword v91, v6, s[8:11], 0 offen               // 000000006D38: E0701000 80025B06
	s_mov_b64 exec, s[36:37]                                   // 000000006D40: BEFE0124
	v_mov_b32_e32 v6, v70                                      // 000000006D44: 7E0C0346
	s_mov_b64 s[60:61], 0                                      // 000000006D48: BEBC0180
	v_readlane_b32 s82, v3, 8                                  // 000000006D4C: D2890052 00011103
	s_and_b32 s82, s82, 0xffffff                               // 000000006D54: 8652FF52 00FFFFFF
	s_cmp_lt_u32 s82, s66                                      // 000000006D5C: BF0A4252
	s_cselect_b32 s20, s36, s60                                // 000000006D60: 85143C24
	v_readlane_b32 s82, v3, 9                                  // 000000006D64: D2890052 00011303
	s_and_b32 s82, s82, 0xffffff                               // 000000006D6C: 8652FF52 00FFFFFF
	s_cmp_lt_u32 s82, s66                                      // 000000006D74: BF0A4252
	s_cselect_b32 s21, s36, s60                                // 000000006D78: 85153C24
	s_mov_b64 exec, s[20:21]                                   // 000000006D7C: BEFE0114
	buffer_store_dword v92, v6, s[8:11], 0 offen               // 000000006D80: E0701000 80025C06
	s_mov_b64 exec, s[36:37]                                   // 000000006D88: BEFE0124
	v_mov_b32_e32 v6, v71                                      // 000000006D8C: 7E0C0347
	s_mov_b64 s[60:61], 0                                      // 000000006D90: BEBC0180
	v_readlane_b32 s82, v3, 10                                 // 000000006D94: D2890052 00011503
	s_and_b32 s82, s82, 0xffffff                               // 000000006D9C: 8652FF52 00FFFFFF
	s_cmp_lt_u32 s82, s66                                      // 000000006DA4: BF0A4252
	s_cselect_b32 s20, s36, s60                                // 000000006DA8: 85143C24
	v_readlane_b32 s82, v3, 11                                 // 000000006DAC: D2890052 00011703
	s_and_b32 s82, s82, 0xffffff                               // 000000006DB4: 8652FF52 00FFFFFF
	s_cmp_lt_u32 s82, s66                                      // 000000006DBC: BF0A4252
	s_cselect_b32 s21, s36, s60                                // 000000006DC0: 85153C24
	s_mov_b64 exec, s[20:21]                                   // 000000006DC4: BEFE0114
	buffer_store_dword v93, v6, s[8:11], 0 offen               // 000000006DC8: E0701000 80025D06
	s_mov_b64 exec, s[36:37]                                   // 000000006DD0: BEFE0124
	v_mov_b32_e32 v6, v72                                      // 000000006DD4: 7E0C0348
	s_mov_b64 s[60:61], 0                                      // 000000006DD8: BEBC0180
	v_readlane_b32 s82, v3, 12                                 // 000000006DDC: D2890052 00011903
	s_and_b32 s82, s82, 0xffffff                               // 000000006DE4: 8652FF52 00FFFFFF
	s_cmp_lt_u32 s82, s66                                      // 000000006DEC: BF0A4252
	s_cselect_b32 s20, s36, s60                                // 000000006DF0: 85143C24
	v_readlane_b32 s82, v3, 13                                 // 000000006DF4: D2890052 00011B03
	s_and_b32 s82, s82, 0xffffff                               // 000000006DFC: 8652FF52 00FFFFFF
	s_cmp_lt_u32 s82, s66                                      // 000000006E04: BF0A4252
	s_cselect_b32 s21, s36, s60                                // 000000006E08: 85153C24
	s_mov_b64 exec, s[20:21]                                   // 000000006E0C: BEFE0114
	buffer_store_dword v94, v6, s[8:11], 0 offen               // 000000006E10: E0701000 80025E06
	s_mov_b64 exec, s[36:37]                                   // 000000006E18: BEFE0124
	v_mov_b32_e32 v6, v73                                      // 000000006E1C: 7E0C0349
	s_mov_b64 s[60:61], 0                                      // 000000006E20: BEBC0180
	v_readlane_b32 s82, v3, 14                                 // 000000006E24: D2890052 00011D03
	s_and_b32 s82, s82, 0xffffff                               // 000000006E2C: 8652FF52 00FFFFFF
	s_cmp_lt_u32 s82, s66                                      // 000000006E34: BF0A4252
	s_cselect_b32 s20, s36, s60                                // 000000006E38: 85143C24
	v_readlane_b32 s82, v3, 15                                 // 000000006E3C: D2890052 00011F03
	s_and_b32 s82, s82, 0xffffff                               // 000000006E44: 8652FF52 00FFFFFF
	s_cmp_lt_u32 s82, s66                                      // 000000006E4C: BF0A4252
	s_cselect_b32 s21, s36, s60                                // 000000006E50: 85153C24
	s_mov_b64 exec, s[20:21]                                   // 000000006E54: BEFE0114
	buffer_store_dword v95, v6, s[8:11], 0 offen               // 000000006E58: E0701000 80025F06
	s_mov_b64 exec, s[36:37]                                   // 000000006E60: BEFE0124
	v_mov_b32_e32 v6, v74                                      // 000000006E64: 7E0C034A
	s_mov_b64 s[60:61], 0                                      // 000000006E68: BEBC0180
	v_readlane_b32 s82, v3, 16                                 // 000000006E6C: D2890052 00012103
	s_and_b32 s82, s82, 0xffffff                               // 000000006E74: 8652FF52 00FFFFFF
	s_cmp_lt_u32 s82, s66                                      // 000000006E7C: BF0A4252
	s_cselect_b32 s20, s36, s60                                // 000000006E80: 85143C24
	v_readlane_b32 s82, v3, 17                                 // 000000006E84: D2890052 00012303
	s_and_b32 s82, s82, 0xffffff                               // 000000006E8C: 8652FF52 00FFFFFF
	s_cmp_lt_u32 s82, s66                                      // 000000006E94: BF0A4252
	s_cselect_b32 s21, s36, s60                                // 000000006E98: 85153C24
	s_mov_b64 exec, s[20:21]                                   // 000000006E9C: BEFE0114
	buffer_store_dword v96, v6, s[8:11], 0 offen               // 000000006EA0: E0701000 80026006
	s_mov_b64 exec, s[36:37]                                   // 000000006EA8: BEFE0124
	v_mov_b32_e32 v6, v75                                      // 000000006EAC: 7E0C034B
	s_mov_b64 s[60:61], 0                                      // 000000006EB0: BEBC0180
	v_readlane_b32 s82, v3, 18                                 // 000000006EB4: D2890052 00012503
	s_and_b32 s82, s82, 0xffffff                               // 000000006EBC: 8652FF52 00FFFFFF
	s_cmp_lt_u32 s82, s66                                      // 000000006EC4: BF0A4252
	s_cselect_b32 s20, s36, s60                                // 000000006EC8: 85143C24
	v_readlane_b32 s82, v3, 19                                 // 000000006ECC: D2890052 00012703
	s_and_b32 s82, s82, 0xffffff                               // 000000006ED4: 8652FF52 00FFFFFF
	s_cmp_lt_u32 s82, s66                                      // 000000006EDC: BF0A4252
	s_cselect_b32 s21, s36, s60                                // 000000006EE0: 85153C24
	s_mov_b64 exec, s[20:21]                                   // 000000006EE4: BEFE0114
	buffer_store_dword v97, v6, s[8:11], 0 offen               // 000000006EE8: E0701000 80026106
	s_mov_b64 exec, s[36:37]                                   // 000000006EF0: BEFE0124
	v_mov_b32_e32 v6, v76                                      // 000000006EF4: 7E0C034C
	s_mov_b64 s[60:61], 0                                      // 000000006EF8: BEBC0180
	v_readlane_b32 s82, v3, 20                                 // 000000006EFC: D2890052 00012903
	s_and_b32 s82, s82, 0xffffff                               // 000000006F04: 8652FF52 00FFFFFF
	s_cmp_lt_u32 s82, s66                                      // 000000006F0C: BF0A4252
	s_cselect_b32 s20, s36, s60                                // 000000006F10: 85143C24
	v_readlane_b32 s82, v3, 21                                 // 000000006F14: D2890052 00012B03
	s_and_b32 s82, s82, 0xffffff                               // 000000006F1C: 8652FF52 00FFFFFF
	s_cmp_lt_u32 s82, s66                                      // 000000006F24: BF0A4252
	s_cselect_b32 s21, s36, s60                                // 000000006F28: 85153C24
	s_mov_b64 exec, s[20:21]                                   // 000000006F2C: BEFE0114
	buffer_store_dword v98, v6, s[8:11], 0 offen               // 000000006F30: E0701000 80026206
	s_mov_b64 exec, s[36:37]                                   // 000000006F38: BEFE0124
	v_mov_b32_e32 v6, v77                                      // 000000006F3C: 7E0C034D
	s_mov_b64 s[60:61], 0                                      // 000000006F40: BEBC0180
	v_readlane_b32 s82, v3, 22                                 // 000000006F44: D2890052 00012D03
	s_and_b32 s82, s82, 0xffffff                               // 000000006F4C: 8652FF52 00FFFFFF
	s_cmp_lt_u32 s82, s66                                      // 000000006F54: BF0A4252
	s_cselect_b32 s20, s36, s60                                // 000000006F58: 85143C24
	v_readlane_b32 s82, v3, 23                                 // 000000006F5C: D2890052 00012F03
	s_and_b32 s82, s82, 0xffffff                               // 000000006F64: 8652FF52 00FFFFFF
	s_cmp_lt_u32 s82, s66                                      // 000000006F6C: BF0A4252
	s_cselect_b32 s21, s36, s60                                // 000000006F70: 85153C24
	s_mov_b64 exec, s[20:21]                                   // 000000006F74: BEFE0114
	buffer_store_dword v99, v6, s[8:11], 0 offen               // 000000006F78: E0701000 80026306
	s_mov_b64 exec, s[36:37]                                   // 000000006F80: BEFE0124
	v_mov_b32_e32 v6, v78                                      // 000000006F84: 7E0C034E
	s_mov_b64 s[60:61], 0                                      // 000000006F88: BEBC0180
	v_readlane_b32 s82, v3, 24                                 // 000000006F8C: D2890052 00013103
	s_and_b32 s82, s82, 0xffffff                               // 000000006F94: 8652FF52 00FFFFFF
	s_cmp_lt_u32 s82, s66                                      // 000000006F9C: BF0A4252
	s_cselect_b32 s20, s36, s60                                // 000000006FA0: 85143C24
	v_readlane_b32 s82, v3, 25                                 // 000000006FA4: D2890052 00013303
	s_and_b32 s82, s82, 0xffffff                               // 000000006FAC: 8652FF52 00FFFFFF
	s_cmp_lt_u32 s82, s66                                      // 000000006FB4: BF0A4252
	s_cselect_b32 s21, s36, s60                                // 000000006FB8: 85153C24
	s_mov_b64 exec, s[20:21]                                   // 000000006FBC: BEFE0114
	buffer_store_dword v100, v6, s[8:11], 0 offen              // 000000006FC0: E0701000 80026406
	s_mov_b64 exec, s[36:37]                                   // 000000006FC8: BEFE0124
	v_mov_b32_e32 v6, v79                                      // 000000006FCC: 7E0C034F
	s_mov_b64 s[60:61], 0                                      // 000000006FD0: BEBC0180
	v_readlane_b32 s82, v3, 26                                 // 000000006FD4: D2890052 00013503
	s_and_b32 s82, s82, 0xffffff                               // 000000006FDC: 8652FF52 00FFFFFF
	s_cmp_lt_u32 s82, s66                                      // 000000006FE4: BF0A4252
	s_cselect_b32 s20, s36, s60                                // 000000006FE8: 85143C24
	v_readlane_b32 s82, v3, 27                                 // 000000006FEC: D2890052 00013703
	s_and_b32 s82, s82, 0xffffff                               // 000000006FF4: 8652FF52 00FFFFFF
	s_cmp_lt_u32 s82, s66                                      // 000000006FFC: BF0A4252
	s_cselect_b32 s21, s36, s60                                // 000000007000: 85153C24
	s_mov_b64 exec, s[20:21]                                   // 000000007004: BEFE0114
	buffer_store_dword v101, v6, s[8:11], 0 offen              // 000000007008: E0701000 80026506
	s_mov_b64 exec, s[36:37]                                   // 000000007010: BEFE0124
	v_mov_b32_e32 v6, v80                                      // 000000007014: 7E0C0350
	s_mov_b64 s[60:61], 0                                      // 000000007018: BEBC0180
	v_readlane_b32 s82, v3, 28                                 // 00000000701C: D2890052 00013903
	s_and_b32 s82, s82, 0xffffff                               // 000000007024: 8652FF52 00FFFFFF
	s_cmp_lt_u32 s82, s66                                      // 00000000702C: BF0A4252
	s_cselect_b32 s20, s36, s60                                // 000000007030: 85143C24
	v_readlane_b32 s82, v3, 29                                 // 000000007034: D2890052 00013B03
	s_and_b32 s82, s82, 0xffffff                               // 00000000703C: 8652FF52 00FFFFFF
	s_cmp_lt_u32 s82, s66                                      // 000000007044: BF0A4252
	s_cselect_b32 s21, s36, s60                                // 000000007048: 85153C24
	s_mov_b64 exec, s[20:21]                                   // 00000000704C: BEFE0114
	buffer_store_dword v102, v6, s[8:11], 0 offen              // 000000007050: E0701000 80026606
	s_mov_b64 exec, s[36:37]                                   // 000000007058: BEFE0124
	v_mov_b32_e32 v6, v81                                      // 00000000705C: 7E0C0351
	s_mov_b64 s[60:61], 0                                      // 000000007060: BEBC0180
	v_readlane_b32 s82, v3, 30                                 // 000000007064: D2890052 00013D03
	s_and_b32 s82, s82, 0xffffff                               // 00000000706C: 8652FF52 00FFFFFF
	s_cmp_lt_u32 s82, s66                                      // 000000007074: BF0A4252
	s_cselect_b32 s20, s36, s60                                // 000000007078: 85143C24
	v_readlane_b32 s82, v3, 31                                 // 00000000707C: D2890052 00013F03
	s_and_b32 s82, s82, 0xffffff                               // 000000007084: 8652FF52 00FFFFFF
	s_cmp_lt_u32 s82, s66                                      // 00000000708C: BF0A4252
	s_cselect_b32 s21, s36, s60                                // 000000007090: 85153C24
	s_mov_b64 exec, s[20:21]                                   // 000000007094: BEFE0114
	buffer_store_dword v103, v6, s[8:11], 0 offen              // 000000007098: E0701000 80026706
	s_mov_b64 exec, s[36:37]                                   // 0000000070A0: BEFE0124
	v_mov_b32_e32 v6, v82                                      // 0000000070A4: 7E0C0352
	s_mov_b64 s[60:61], 0                                      // 0000000070A8: BEBC0180
	v_readlane_b32 s82, v3, 32                                 // 0000000070AC: D2890052 00014103
	s_and_b32 s82, s82, 0xffffff                               // 0000000070B4: 8652FF52 00FFFFFF
	s_cmp_lt_u32 s82, s66                                      // 0000000070BC: BF0A4252
	s_cselect_b32 s20, s36, s60                                // 0000000070C0: 85143C24
	v_readlane_b32 s82, v3, 33                                 // 0000000070C4: D2890052 00014303
	s_and_b32 s82, s82, 0xffffff                               // 0000000070CC: 8652FF52 00FFFFFF
	s_cmp_lt_u32 s82, s66                                      // 0000000070D4: BF0A4252
	s_cselect_b32 s21, s36, s60                                // 0000000070D8: 85153C24
	s_mov_b64 exec, s[20:21]                                   // 0000000070DC: BEFE0114
	buffer_store_dword v104, v6, s[8:11], 0 offen              // 0000000070E0: E0701000 80026806
	s_mov_b64 exec, s[36:37]                                   // 0000000070E8: BEFE0124
	v_mov_b32_e32 v6, v83                                      // 0000000070EC: 7E0C0353
	s_mov_b64 s[60:61], 0                                      // 0000000070F0: BEBC0180
	v_readlane_b32 s82, v3, 34                                 // 0000000070F4: D2890052 00014503
	s_and_b32 s82, s82, 0xffffff                               // 0000000070FC: 8652FF52 00FFFFFF
	s_cmp_lt_u32 s82, s66                                      // 000000007104: BF0A4252
	s_cselect_b32 s20, s36, s60                                // 000000007108: 85143C24
	v_readlane_b32 s82, v3, 35                                 // 00000000710C: D2890052 00014703
	s_and_b32 s82, s82, 0xffffff                               // 000000007114: 8652FF52 00FFFFFF
	s_cmp_lt_u32 s82, s66                                      // 00000000711C: BF0A4252
	s_cselect_b32 s21, s36, s60                                // 000000007120: 85153C24
	s_mov_b64 exec, s[20:21]                                   // 000000007124: BEFE0114
	buffer_store_dword v105, v6, s[8:11], 0 offen              // 000000007128: E0701000 80026906
	s_mov_b64 exec, s[36:37]                                   // 000000007130: BEFE0124
	s_branch label_2F47                                        // 000000007134: BF821D76

0000000000007138 <label_11CE>:
	ds_write_b64 v20, v[88:89]                                 // 000000007138: D89A0000 00005814
	ds_write_b64 v20, v[92:93] offset:2176                     // 000000007140: D89A0880 00005C14
	ds_write_b64 v20, v[96:97] offset:4352                     // 000000007148: D89A1100 00006014
	ds_write_b64 v20, v[100:101] offset:6528                   // 000000007150: D89A1980 00006414
	ds_write_b64 v20, v[104:105] offset:8704                   // 000000007158: D89A2200 00006814
	ds_write_b64 v20, v[108:109] offset:10880                  // 000000007160: D89A2A80 00006C14
	ds_write_b64 v20, v[112:113] offset:13056                  // 000000007168: D89A3300 00007014
	ds_write_b64 v20, v[116:117] offset:15232                  // 000000007170: D89A3B80 00007414
	ds_write_b64 v20, v[120:121] offset:17408                  // 000000007178: D89A4400 00007814
	v_lshrrev_b32_e32 v4, 5, v0                                // 000000007180: 20080085
	v_xor_b32_e32 v5, 1, v4                                    // 000000007184: 2A0A0881
	s_mul_i32 s60, s65, 2                                      // 000000007188: 923C8241
	s_cmp_eq_u32 s88, 0                                        // 00000000718C: BF068058
	s_cselect_b32 s61, 1, 4                                    // 000000007190: 853D8481
	s_mul_i32 s60, s61, s60                                    // 000000007194: 923C3C3D
	v_readlane_b32 s82, v3, 0                                  // 000000007198: D2890052 00010103
	s_lshr_b32 s61, s82, 24                                    // 0000000071A0: 8F3D9852
	s_and_b32 s82, s82, 0xffffff                               // 0000000071A4: 8652FF52 00FFFFFF
	s_mul_i32 s82, s82, s71                                    // 0000000071AC: 92524752
	s_mul_i32 s61, s60, s61                                    // 0000000071B0: 923D3D3C
	s_add_u32 s82, s82, s61                                    // 0000000071B4: 80523D52
	v_mul_lo_u32 v6, v5, s82                                   // 0000000071B8: D2850006 0000A505
	v_readlane_b32 s82, v3, 1                                  // 0000000071C0: D2890052 00010303
	s_lshr_b32 s61, s82, 24                                    // 0000000071C8: 8F3D9852
	s_and_b32 s82, s82, 0xffffff                               // 0000000071CC: 8652FF52 00FFFFFF
	s_mul_i32 s82, s82, s71                                    // 0000000071D4: 92524752
	s_mul_i32 s61, s60, s61                                    // 0000000071D8: 923D3D3C
	s_add_u32 s82, s82, s61                                    // 0000000071DC: 80523D52
	v_mul_lo_u32 v7, v4, s82                                   // 0000000071E0: D2850007 0000A504
	v_add_u32_e32 v66, v6, v7                                  // 0000000071E8: 68840F06
	v_readlane_b32 s82, v3, 2                                  // 0000000071EC: D2890052 00010503
	s_lshr_b32 s61, s82, 24                                    // 0000000071F4: 8F3D9852
	s_and_b32 s82, s82, 0xffffff                               // 0000000071F8: 8652FF52 00FFFFFF
	s_mul_i32 s82, s82, s71                                    // 000000007200: 92524752
	s_mul_i32 s61, s60, s61                                    // 000000007204: 923D3D3C
	s_add_u32 s82, s82, s61                                    // 000000007208: 80523D52
	v_mul_lo_u32 v6, v5, s82                                   // 00000000720C: D2850006 0000A505
	v_readlane_b32 s82, v3, 3                                  // 000000007214: D2890052 00010703
	s_lshr_b32 s61, s82, 24                                    // 00000000721C: 8F3D9852
	s_and_b32 s82, s82, 0xffffff                               // 000000007220: 8652FF52 00FFFFFF
	s_mul_i32 s82, s82, s71                                    // 000000007228: 92524752
	s_mul_i32 s61, s60, s61                                    // 00000000722C: 923D3D3C
	s_add_u32 s82, s82, s61                                    // 000000007230: 80523D52
	v_mul_lo_u32 v7, v4, s82                                   // 000000007234: D2850007 0000A504
	v_add_u32_e32 v67, v6, v7                                  // 00000000723C: 68860F06
	v_readlane_b32 s82, v3, 4                                  // 000000007240: D2890052 00010903
	s_lshr_b32 s61, s82, 24                                    // 000000007248: 8F3D9852
	s_and_b32 s82, s82, 0xffffff                               // 00000000724C: 8652FF52 00FFFFFF
	s_mul_i32 s82, s82, s71                                    // 000000007254: 92524752
	s_mul_i32 s61, s60, s61                                    // 000000007258: 923D3D3C
	s_add_u32 s82, s82, s61                                    // 00000000725C: 80523D52
	v_mul_lo_u32 v6, v5, s82                                   // 000000007260: D2850006 0000A505
	v_readlane_b32 s82, v3, 5                                  // 000000007268: D2890052 00010B03
	s_lshr_b32 s61, s82, 24                                    // 000000007270: 8F3D9852
	s_and_b32 s82, s82, 0xffffff                               // 000000007274: 8652FF52 00FFFFFF
	s_mul_i32 s82, s82, s71                                    // 00000000727C: 92524752
	s_mul_i32 s61, s60, s61                                    // 000000007280: 923D3D3C
	s_add_u32 s82, s82, s61                                    // 000000007284: 80523D52
	v_mul_lo_u32 v7, v4, s82                                   // 000000007288: D2850007 0000A504
	v_add_u32_e32 v68, v6, v7                                  // 000000007290: 68880F06
	v_readlane_b32 s82, v3, 6                                  // 000000007294: D2890052 00010D03
	s_lshr_b32 s61, s82, 24                                    // 00000000729C: 8F3D9852
	s_and_b32 s82, s82, 0xffffff                               // 0000000072A0: 8652FF52 00FFFFFF
	s_mul_i32 s82, s82, s71                                    // 0000000072A8: 92524752
	s_mul_i32 s61, s60, s61                                    // 0000000072AC: 923D3D3C
	s_add_u32 s82, s82, s61                                    // 0000000072B0: 80523D52
	v_mul_lo_u32 v6, v5, s82                                   // 0000000072B4: D2850006 0000A505
	v_readlane_b32 s82, v3, 7                                  // 0000000072BC: D2890052 00010F03
	s_lshr_b32 s61, s82, 24                                    // 0000000072C4: 8F3D9852
	s_and_b32 s82, s82, 0xffffff                               // 0000000072C8: 8652FF52 00FFFFFF
	s_mul_i32 s82, s82, s71                                    // 0000000072D0: 92524752
	s_mul_i32 s61, s60, s61                                    // 0000000072D4: 923D3D3C
	s_add_u32 s82, s82, s61                                    // 0000000072D8: 80523D52
	v_mul_lo_u32 v7, v4, s82                                   // 0000000072DC: D2850007 0000A504
	v_add_u32_e32 v69, v6, v7                                  // 0000000072E4: 688A0F06
	v_readlane_b32 s82, v3, 8                                  // 0000000072E8: D2890052 00011103
	s_lshr_b32 s61, s82, 24                                    // 0000000072F0: 8F3D9852
	s_and_b32 s82, s82, 0xffffff                               // 0000000072F4: 8652FF52 00FFFFFF
	s_mul_i32 s82, s82, s71                                    // 0000000072FC: 92524752
	s_mul_i32 s61, s60, s61                                    // 000000007300: 923D3D3C
	s_add_u32 s82, s82, s61                                    // 000000007304: 80523D52
	v_mul_lo_u32 v6, v5, s82                                   // 000000007308: D2850006 0000A505
	v_readlane_b32 s82, v3, 9                                  // 000000007310: D2890052 00011303
	s_lshr_b32 s61, s82, 24                                    // 000000007318: 8F3D9852
	s_and_b32 s82, s82, 0xffffff                               // 00000000731C: 8652FF52 00FFFFFF
	s_mul_i32 s82, s82, s71                                    // 000000007324: 92524752
	s_mul_i32 s61, s60, s61                                    // 000000007328: 923D3D3C
	s_add_u32 s82, s82, s61                                    // 00000000732C: 80523D52
	v_mul_lo_u32 v7, v4, s82                                   // 000000007330: D2850007 0000A504
	v_add_u32_e32 v70, v6, v7                                  // 000000007338: 688C0F06
	v_readlane_b32 s82, v3, 10                                 // 00000000733C: D2890052 00011503
	s_lshr_b32 s61, s82, 24                                    // 000000007344: 8F3D9852
	s_and_b32 s82, s82, 0xffffff                               // 000000007348: 8652FF52 00FFFFFF
	s_mul_i32 s82, s82, s71                                    // 000000007350: 92524752
	s_mul_i32 s61, s60, s61                                    // 000000007354: 923D3D3C
	s_add_u32 s82, s82, s61                                    // 000000007358: 80523D52
	v_mul_lo_u32 v6, v5, s82                                   // 00000000735C: D2850006 0000A505
	v_readlane_b32 s82, v3, 11                                 // 000000007364: D2890052 00011703
	s_lshr_b32 s61, s82, 24                                    // 00000000736C: 8F3D9852
	s_and_b32 s82, s82, 0xffffff                               // 000000007370: 8652FF52 00FFFFFF
	s_mul_i32 s82, s82, s71                                    // 000000007378: 92524752
	s_mul_i32 s61, s60, s61                                    // 00000000737C: 923D3D3C
	s_add_u32 s82, s82, s61                                    // 000000007380: 80523D52
	v_mul_lo_u32 v7, v4, s82                                   // 000000007384: D2850007 0000A504
	v_add_u32_e32 v71, v6, v7                                  // 00000000738C: 688E0F06
	v_readlane_b32 s82, v3, 12                                 // 000000007390: D2890052 00011903
	s_lshr_b32 s61, s82, 24                                    // 000000007398: 8F3D9852
	s_and_b32 s82, s82, 0xffffff                               // 00000000739C: 8652FF52 00FFFFFF
	s_mul_i32 s82, s82, s71                                    // 0000000073A4: 92524752
	s_mul_i32 s61, s60, s61                                    // 0000000073A8: 923D3D3C
	s_add_u32 s82, s82, s61                                    // 0000000073AC: 80523D52
	v_mul_lo_u32 v6, v5, s82                                   // 0000000073B0: D2850006 0000A505
	v_readlane_b32 s82, v3, 13                                 // 0000000073B8: D2890052 00011B03
	s_lshr_b32 s61, s82, 24                                    // 0000000073C0: 8F3D9852
	s_and_b32 s82, s82, 0xffffff                               // 0000000073C4: 8652FF52 00FFFFFF
	s_mul_i32 s82, s82, s71                                    // 0000000073CC: 92524752
	s_mul_i32 s61, s60, s61                                    // 0000000073D0: 923D3D3C
	s_add_u32 s82, s82, s61                                    // 0000000073D4: 80523D52
	v_mul_lo_u32 v7, v4, s82                                   // 0000000073D8: D2850007 0000A504
	v_add_u32_e32 v72, v6, v7                                  // 0000000073E0: 68900F06
	v_readlane_b32 s82, v3, 14                                 // 0000000073E4: D2890052 00011D03
	s_lshr_b32 s61, s82, 24                                    // 0000000073EC: 8F3D9852
	s_and_b32 s82, s82, 0xffffff                               // 0000000073F0: 8652FF52 00FFFFFF
	s_mul_i32 s82, s82, s71                                    // 0000000073F8: 92524752
	s_mul_i32 s61, s60, s61                                    // 0000000073FC: 923D3D3C
	s_add_u32 s82, s82, s61                                    // 000000007400: 80523D52
	v_mul_lo_u32 v6, v5, s82                                   // 000000007404: D2850006 0000A505
	v_readlane_b32 s82, v3, 15                                 // 00000000740C: D2890052 00011F03
	s_lshr_b32 s61, s82, 24                                    // 000000007414: 8F3D9852
	s_and_b32 s82, s82, 0xffffff                               // 000000007418: 8652FF52 00FFFFFF
	s_mul_i32 s82, s82, s71                                    // 000000007420: 92524752
	s_mul_i32 s61, s60, s61                                    // 000000007424: 923D3D3C
	s_add_u32 s82, s82, s61                                    // 000000007428: 80523D52
	v_mul_lo_u32 v7, v4, s82                                   // 00000000742C: D2850007 0000A504
	v_add_u32_e32 v73, v6, v7                                  // 000000007434: 68920F06
	v_readlane_b32 s82, v3, 16                                 // 000000007438: D2890052 00012103
	s_lshr_b32 s61, s82, 24                                    // 000000007440: 8F3D9852
	s_and_b32 s82, s82, 0xffffff                               // 000000007444: 8652FF52 00FFFFFF
	s_mul_i32 s82, s82, s71                                    // 00000000744C: 92524752
	s_mul_i32 s61, s60, s61                                    // 000000007450: 923D3D3C
	s_add_u32 s82, s82, s61                                    // 000000007454: 80523D52
	v_mul_lo_u32 v6, v5, s82                                   // 000000007458: D2850006 0000A505
	v_readlane_b32 s82, v3, 17                                 // 000000007460: D2890052 00012303
	s_lshr_b32 s61, s82, 24                                    // 000000007468: 8F3D9852
	s_and_b32 s82, s82, 0xffffff                               // 00000000746C: 8652FF52 00FFFFFF
	s_mul_i32 s82, s82, s71                                    // 000000007474: 92524752
	s_mul_i32 s61, s60, s61                                    // 000000007478: 923D3D3C
	s_add_u32 s82, s82, s61                                    // 00000000747C: 80523D52
	v_mul_lo_u32 v7, v4, s82                                   // 000000007480: D2850007 0000A504
	v_add_u32_e32 v74, v6, v7                                  // 000000007488: 68940F06
	v_readlane_b32 s82, v3, 18                                 // 00000000748C: D2890052 00012503
	s_lshr_b32 s61, s82, 24                                    // 000000007494: 8F3D9852
	s_and_b32 s82, s82, 0xffffff                               // 000000007498: 8652FF52 00FFFFFF
	s_mul_i32 s82, s82, s71                                    // 0000000074A0: 92524752
	s_mul_i32 s61, s60, s61                                    // 0000000074A4: 923D3D3C
	s_add_u32 s82, s82, s61                                    // 0000000074A8: 80523D52
	v_mul_lo_u32 v6, v5, s82                                   // 0000000074AC: D2850006 0000A505
	v_readlane_b32 s82, v3, 19                                 // 0000000074B4: D2890052 00012703
	s_lshr_b32 s61, s82, 24                                    // 0000000074BC: 8F3D9852
	s_and_b32 s82, s82, 0xffffff                               // 0000000074C0: 8652FF52 00FFFFFF
	s_mul_i32 s82, s82, s71                                    // 0000000074C8: 92524752
	s_mul_i32 s61, s60, s61                                    // 0000000074CC: 923D3D3C
	s_add_u32 s82, s82, s61                                    // 0000000074D0: 80523D52
	v_mul_lo_u32 v7, v4, s82                                   // 0000000074D4: D2850007 0000A504
	v_add_u32_e32 v75, v6, v7                                  // 0000000074DC: 68960F06
	v_readlane_b32 s82, v3, 20                                 // 0000000074E0: D2890052 00012903
	s_lshr_b32 s61, s82, 24                                    // 0000000074E8: 8F3D9852
	s_and_b32 s82, s82, 0xffffff                               // 0000000074EC: 8652FF52 00FFFFFF
	s_mul_i32 s82, s82, s71                                    // 0000000074F4: 92524752
	s_mul_i32 s61, s60, s61                                    // 0000000074F8: 923D3D3C
	s_add_u32 s82, s82, s61                                    // 0000000074FC: 80523D52
	v_mul_lo_u32 v6, v5, s82                                   // 000000007500: D2850006 0000A505
	v_readlane_b32 s82, v3, 21                                 // 000000007508: D2890052 00012B03
	s_lshr_b32 s61, s82, 24                                    // 000000007510: 8F3D9852
	s_and_b32 s82, s82, 0xffffff                               // 000000007514: 8652FF52 00FFFFFF
	s_mul_i32 s82, s82, s71                                    // 00000000751C: 92524752
	s_mul_i32 s61, s60, s61                                    // 000000007520: 923D3D3C
	s_add_u32 s82, s82, s61                                    // 000000007524: 80523D52
	v_mul_lo_u32 v7, v4, s82                                   // 000000007528: D2850007 0000A504
	v_add_u32_e32 v76, v6, v7                                  // 000000007530: 68980F06
	v_readlane_b32 s82, v3, 22                                 // 000000007534: D2890052 00012D03
	s_lshr_b32 s61, s82, 24                                    // 00000000753C: 8F3D9852
	s_and_b32 s82, s82, 0xffffff                               // 000000007540: 8652FF52 00FFFFFF
	s_mul_i32 s82, s82, s71                                    // 000000007548: 92524752
	s_mul_i32 s61, s60, s61                                    // 00000000754C: 923D3D3C
	s_add_u32 s82, s82, s61                                    // 000000007550: 80523D52
	v_mul_lo_u32 v6, v5, s82                                   // 000000007554: D2850006 0000A505
	v_readlane_b32 s82, v3, 23                                 // 00000000755C: D2890052 00012F03
	s_lshr_b32 s61, s82, 24                                    // 000000007564: 8F3D9852
	s_and_b32 s82, s82, 0xffffff                               // 000000007568: 8652FF52 00FFFFFF
	s_mul_i32 s82, s82, s71                                    // 000000007570: 92524752
	s_mul_i32 s61, s60, s61                                    // 000000007574: 923D3D3C
	s_add_u32 s82, s82, s61                                    // 000000007578: 80523D52
	v_mul_lo_u32 v7, v4, s82                                   // 00000000757C: D2850007 0000A504
	v_add_u32_e32 v77, v6, v7                                  // 000000007584: 689A0F06
	v_readlane_b32 s82, v3, 24                                 // 000000007588: D2890052 00013103
	s_lshr_b32 s61, s82, 24                                    // 000000007590: 8F3D9852
	s_and_b32 s82, s82, 0xffffff                               // 000000007594: 8652FF52 00FFFFFF
	s_mul_i32 s82, s82, s71                                    // 00000000759C: 92524752
	s_mul_i32 s61, s60, s61                                    // 0000000075A0: 923D3D3C
	s_add_u32 s82, s82, s61                                    // 0000000075A4: 80523D52
	v_mul_lo_u32 v6, v5, s82                                   // 0000000075A8: D2850006 0000A505
	v_readlane_b32 s82, v3, 25                                 // 0000000075B0: D2890052 00013303
	s_lshr_b32 s61, s82, 24                                    // 0000000075B8: 8F3D9852
	s_and_b32 s82, s82, 0xffffff                               // 0000000075BC: 8652FF52 00FFFFFF
	s_mul_i32 s82, s82, s71                                    // 0000000075C4: 92524752
	s_mul_i32 s61, s60, s61                                    // 0000000075C8: 923D3D3C
	s_add_u32 s82, s82, s61                                    // 0000000075CC: 80523D52
	v_mul_lo_u32 v7, v4, s82                                   // 0000000075D0: D2850007 0000A504
	v_add_u32_e32 v78, v6, v7                                  // 0000000075D8: 689C0F06
	v_readlane_b32 s82, v3, 26                                 // 0000000075DC: D2890052 00013503
	s_lshr_b32 s61, s82, 24                                    // 0000000075E4: 8F3D9852
	s_and_b32 s82, s82, 0xffffff                               // 0000000075E8: 8652FF52 00FFFFFF
	s_mul_i32 s82, s82, s71                                    // 0000000075F0: 92524752
	s_mul_i32 s61, s60, s61                                    // 0000000075F4: 923D3D3C
	s_add_u32 s82, s82, s61                                    // 0000000075F8: 80523D52
	v_mul_lo_u32 v6, v5, s82                                   // 0000000075FC: D2850006 0000A505
	v_readlane_b32 s82, v3, 27                                 // 000000007604: D2890052 00013703
	s_lshr_b32 s61, s82, 24                                    // 00000000760C: 8F3D9852
	s_and_b32 s82, s82, 0xffffff                               // 000000007610: 8652FF52 00FFFFFF
	s_mul_i32 s82, s82, s71                                    // 000000007618: 92524752
	s_mul_i32 s61, s60, s61                                    // 00000000761C: 923D3D3C
	s_add_u32 s82, s82, s61                                    // 000000007620: 80523D52
	v_mul_lo_u32 v7, v4, s82                                   // 000000007624: D2850007 0000A504
	v_add_u32_e32 v79, v6, v7                                  // 00000000762C: 689E0F06
	v_readlane_b32 s82, v3, 28                                 // 000000007630: D2890052 00013903
	s_lshr_b32 s61, s82, 24                                    // 000000007638: 8F3D9852
	s_and_b32 s82, s82, 0xffffff                               // 00000000763C: 8652FF52 00FFFFFF
	s_mul_i32 s82, s82, s71                                    // 000000007644: 92524752
	s_mul_i32 s61, s60, s61                                    // 000000007648: 923D3D3C
	s_add_u32 s82, s82, s61                                    // 00000000764C: 80523D52
	v_mul_lo_u32 v6, v5, s82                                   // 000000007650: D2850006 0000A505
	v_readlane_b32 s82, v3, 29                                 // 000000007658: D2890052 00013B03
	s_lshr_b32 s61, s82, 24                                    // 000000007660: 8F3D9852
	s_and_b32 s82, s82, 0xffffff                               // 000000007664: 8652FF52 00FFFFFF
	s_mul_i32 s82, s82, s71                                    // 00000000766C: 92524752
	s_mul_i32 s61, s60, s61                                    // 000000007670: 923D3D3C
	s_add_u32 s82, s82, s61                                    // 000000007674: 80523D52
	v_mul_lo_u32 v7, v4, s82                                   // 000000007678: D2850007 0000A504
	v_add_u32_e32 v80, v6, v7                                  // 000000007680: 68A00F06
	v_readlane_b32 s82, v3, 30                                 // 000000007684: D2890052 00013D03
	s_lshr_b32 s61, s82, 24                                    // 00000000768C: 8F3D9852
	s_and_b32 s82, s82, 0xffffff                               // 000000007690: 8652FF52 00FFFFFF
	s_mul_i32 s82, s82, s71                                    // 000000007698: 92524752
	s_mul_i32 s61, s60, s61                                    // 00000000769C: 923D3D3C
	s_add_u32 s82, s82, s61                                    // 0000000076A0: 80523D52
	v_mul_lo_u32 v6, v5, s82                                   // 0000000076A4: D2850006 0000A505
	v_readlane_b32 s82, v3, 31                                 // 0000000076AC: D2890052 00013F03
	s_lshr_b32 s61, s82, 24                                    // 0000000076B4: 8F3D9852
	s_and_b32 s82, s82, 0xffffff                               // 0000000076B8: 8652FF52 00FFFFFF
	s_mul_i32 s82, s82, s71                                    // 0000000076C0: 92524752
	s_mul_i32 s61, s60, s61                                    // 0000000076C4: 923D3D3C
	s_add_u32 s82, s82, s61                                    // 0000000076C8: 80523D52
	v_mul_lo_u32 v7, v4, s82                                   // 0000000076CC: D2850007 0000A504
	v_add_u32_e32 v81, v6, v7                                  // 0000000076D4: 68A20F06
	v_readlane_b32 s82, v3, 32                                 // 0000000076D8: D2890052 00014103
	s_lshr_b32 s61, s82, 24                                    // 0000000076E0: 8F3D9852
	s_and_b32 s82, s82, 0xffffff                               // 0000000076E4: 8652FF52 00FFFFFF
	s_mul_i32 s82, s82, s71                                    // 0000000076EC: 92524752
	s_mul_i32 s61, s60, s61                                    // 0000000076F0: 923D3D3C
	s_add_u32 s82, s82, s61                                    // 0000000076F4: 80523D52
	v_mul_lo_u32 v6, v5, s82                                   // 0000000076F8: D2850006 0000A505
	v_readlane_b32 s82, v3, 33                                 // 000000007700: D2890052 00014303
	s_lshr_b32 s61, s82, 24                                    // 000000007708: 8F3D9852
	s_and_b32 s82, s82, 0xffffff                               // 00000000770C: 8652FF52 00FFFFFF
	s_mul_i32 s82, s82, s71                                    // 000000007714: 92524752
	s_mul_i32 s61, s60, s61                                    // 000000007718: 923D3D3C
	s_add_u32 s82, s82, s61                                    // 00000000771C: 80523D52
	v_mul_lo_u32 v7, v4, s82                                   // 000000007720: D2850007 0000A504
	v_add_u32_e32 v82, v6, v7                                  // 000000007728: 68A40F06
	v_readlane_b32 s82, v3, 34                                 // 00000000772C: D2890052 00014503
	s_lshr_b32 s61, s82, 24                                    // 000000007734: 8F3D9852
	s_and_b32 s82, s82, 0xffffff                               // 000000007738: 8652FF52 00FFFFFF
	s_mul_i32 s82, s82, s71                                    // 000000007740: 92524752
	s_mul_i32 s61, s60, s61                                    // 000000007744: 923D3D3C
	s_add_u32 s82, s82, s61                                    // 000000007748: 80523D52
	v_mul_lo_u32 v6, v5, s82                                   // 00000000774C: D2850006 0000A505
	v_readlane_b32 s82, v3, 35                                 // 000000007754: D2890052 00014703
	s_lshr_b32 s61, s82, 24                                    // 00000000775C: 8F3D9852
	s_and_b32 s82, s82, 0xffffff                               // 000000007760: 8652FF52 00FFFFFF
	s_mul_i32 s82, s82, s71                                    // 000000007768: 92524752
	s_mul_i32 s61, s60, s61                                    // 00000000776C: 923D3D3C
	s_add_u32 s82, s82, s61                                    // 000000007770: 80523D52
	v_mul_lo_u32 v7, v4, s82                                   // 000000007774: D2850007 0000A504
	v_add_u32_e32 v83, v6, v7                                  // 00000000777C: 68A60F06
	v_and_b32_e32 v4, 31, v0                                   // 000000007780: 2608009F
	v_lshrrev_b32_e32 v4, 1, v4                                // 000000007784: 20080881
	s_cmp_eq_u32 s88, 0                                        // 000000007788: BF068058
	s_cselect_b32 s61, 2, 4                                    // 00000000778C: 853D8482
	v_mul_lo_u32 v4, v4, s61                                   // 000000007790: D2850004 00007B04
	v_and_b32_e64 v5, v0, 1                                    // 000000007798: D1130005 00010300
	v_add_u32_e32 v4, v4, v5                                   // 0000000077A0: 68080B04
	v_lshlrev_b32_e32 v4, 2, v4                                // 0000000077A4: 24080882
	v_add_u32_e32 v66, v66, v4                                 // 0000000077A8: 68840942
	v_add_u32_e32 v67, v67, v4                                 // 0000000077AC: 68860943
	v_add_u32_e32 v68, v68, v4                                 // 0000000077B0: 68880944
	v_add_u32_e32 v69, v69, v4                                 // 0000000077B4: 688A0945
	v_add_u32_e32 v70, v70, v4                                 // 0000000077B8: 688C0946
	v_add_u32_e32 v71, v71, v4                                 // 0000000077BC: 688E0947
	v_add_u32_e32 v72, v72, v4                                 // 0000000077C0: 68900948
	v_add_u32_e32 v73, v73, v4                                 // 0000000077C4: 68920949
	v_add_u32_e32 v74, v74, v4                                 // 0000000077C8: 6894094A
	v_add_u32_e32 v75, v75, v4                                 // 0000000077CC: 6896094B
	v_add_u32_e32 v76, v76, v4                                 // 0000000077D0: 6898094C
	v_add_u32_e32 v77, v77, v4                                 // 0000000077D4: 689A094D
	v_add_u32_e32 v78, v78, v4                                 // 0000000077D8: 689C094E
	v_add_u32_e32 v79, v79, v4                                 // 0000000077DC: 689E094F
	v_add_u32_e32 v80, v80, v4                                 // 0000000077E0: 68A00950
	v_add_u32_e32 v81, v81, v4                                 // 0000000077E4: 68A20951
	v_add_u32_e32 v82, v82, v4                                 // 0000000077E8: 68A40952
	v_add_u32_e32 v83, v83, v4                                 // 0000000077EC: 68A60953
	s_waitcnt lgkmcnt(0)                                       // 0000000077F0: BF8CC07F
	s_barrier                                                  // 0000000077F4: BF8A0000
	ds_read_b32 v88, v21                                       // 0000000077F8: D86C0000 58000015
	ds_read_b32 v89, v21 offset:64                             // 000000007800: D86C0040 59000015
	ds_read_b32 v92, v21 offset:2176                           // 000000007808: D86C0880 5C000015
	ds_read_b32 v93, v21 offset:2240                           // 000000007810: D86C08C0 5D000015
	ds_read_b32 v96, v21 offset:4352                           // 000000007818: D86C1100 60000015
	ds_read_b32 v97, v21 offset:4416                           // 000000007820: D86C1140 61000015
	ds_read_b32 v100, v21 offset:6528                          // 000000007828: D86C1980 64000015
	ds_read_b32 v101, v21 offset:6592                          // 000000007830: D86C19C0 65000015
	ds_read_b32 v104, v21 offset:8704                          // 000000007838: D86C2200 68000015
	ds_read_b32 v105, v21 offset:8768                          // 000000007840: D86C2240 69000015
	ds_read_b32 v108, v21 offset:10880                         // 000000007848: D86C2A80 6C000015
	ds_read_b32 v109, v21 offset:10944                         // 000000007850: D86C2AC0 6D000015
	ds_read_b32 v112, v21 offset:13056                         // 000000007858: D86C3300 70000015
	ds_read_b32 v113, v21 offset:13120                         // 000000007860: D86C3340 71000015
	ds_read_b32 v116, v21 offset:15232                         // 000000007868: D86C3B80 74000015
	ds_read_b32 v117, v21 offset:15296                         // 000000007870: D86C3BC0 75000015
	ds_read_b32 v120, v21 offset:17408                         // 000000007878: D86C4400 78000015
	ds_read_b32 v121, v21 offset:17472                         // 000000007880: D86C4440 79000015
	s_waitcnt lgkmcnt(0)                                       // 000000007888: BF8CC07F
	s_mov_b32 s36, -1                                          // 00000000788C: BEA400C1
	s_mov_b32 s37, -1                                          // 000000007890: BEA500C1
	v_mov_b32_e32 v7, 0                                        // 000000007894: 7E0E0280
	s_mov_b64 exec, s[36:37]                                   // 000000007898: BEFE0124
	v_mov_b32_e32 v6, v66                                      // 00000000789C: 7E0C0342
	s_mov_b64 s[60:61], 0                                      // 0000000078A0: BEBC0180
	v_readlane_b32 s82, v3, 0                                  // 0000000078A4: D2890052 00010103
	s_and_b32 s82, s82, 0xffffff                               // 0000000078AC: 8652FF52 00FFFFFF
	s_cmp_lt_u32 s82, s66                                      // 0000000078B4: BF0A4252
	s_cselect_b32 s20, s36, s60                                // 0000000078B8: 85143C24
	v_readlane_b32 s82, v3, 1                                  // 0000000078BC: D2890052 00010303
	s_and_b32 s82, s82, 0xffffff                               // 0000000078C4: 8652FF52 00FFFFFF
	s_cmp_lt_u32 s82, s66                                      // 0000000078CC: BF0A4252
	s_cselect_b32 s21, s36, s60                                // 0000000078D0: 85153C24
	s_mov_b64 exec, s[20:21]                                   // 0000000078D4: BEFE0114
	global_atomic_add_f32 v6, v88, s[8:9]                      // 0000000078D8: DD348000 00085806
	s_mov_b64 exec, s[36:37]                                   // 0000000078E0: BEFE0124
	v_mov_b32_e32 v6, v67                                      // 0000000078E4: 7E0C0343
	s_mov_b64 s[60:61], 0                                      // 0000000078E8: BEBC0180
	v_readlane_b32 s82, v3, 2                                  // 0000000078EC: D2890052 00010503
	s_and_b32 s82, s82, 0xffffff                               // 0000000078F4: 8652FF52 00FFFFFF
	s_cmp_lt_u32 s82, s66                                      // 0000000078FC: BF0A4252
	s_cselect_b32 s20, s36, s60                                // 000000007900: 85143C24
	v_readlane_b32 s82, v3, 3                                  // 000000007904: D2890052 00010703
	s_and_b32 s82, s82, 0xffffff                               // 00000000790C: 8652FF52 00FFFFFF
	s_cmp_lt_u32 s82, s66                                      // 000000007914: BF0A4252
	s_cselect_b32 s21, s36, s60                                // 000000007918: 85153C24
	s_mov_b64 exec, s[20:21]                                   // 00000000791C: BEFE0114
	global_atomic_add_f32 v6, v89, s[8:9]                      // 000000007920: DD348000 00085906
	s_mov_b64 exec, s[36:37]                                   // 000000007928: BEFE0124
	v_mov_b32_e32 v6, v68                                      // 00000000792C: 7E0C0344
	s_mov_b64 s[60:61], 0                                      // 000000007930: BEBC0180
	v_readlane_b32 s82, v3, 4                                  // 000000007934: D2890052 00010903
	s_and_b32 s82, s82, 0xffffff                               // 00000000793C: 8652FF52 00FFFFFF
	s_cmp_lt_u32 s82, s66                                      // 000000007944: BF0A4252
	s_cselect_b32 s20, s36, s60                                // 000000007948: 85143C24
	v_readlane_b32 s82, v3, 5                                  // 00000000794C: D2890052 00010B03
	s_and_b32 s82, s82, 0xffffff                               // 000000007954: 8652FF52 00FFFFFF
	s_cmp_lt_u32 s82, s66                                      // 00000000795C: BF0A4252
	s_cselect_b32 s21, s36, s60                                // 000000007960: 85153C24
	s_mov_b64 exec, s[20:21]                                   // 000000007964: BEFE0114
	global_atomic_add_f32 v6, v92, s[8:9]                      // 000000007968: DD348000 00085C06
	s_mov_b64 exec, s[36:37]                                   // 000000007970: BEFE0124
	v_mov_b32_e32 v6, v69                                      // 000000007974: 7E0C0345
	s_mov_b64 s[60:61], 0                                      // 000000007978: BEBC0180
	v_readlane_b32 s82, v3, 6                                  // 00000000797C: D2890052 00010D03
	s_and_b32 s82, s82, 0xffffff                               // 000000007984: 8652FF52 00FFFFFF
	s_cmp_lt_u32 s82, s66                                      // 00000000798C: BF0A4252
	s_cselect_b32 s20, s36, s60                                // 000000007990: 85143C24
	v_readlane_b32 s82, v3, 7                                  // 000000007994: D2890052 00010F03
	s_and_b32 s82, s82, 0xffffff                               // 00000000799C: 8652FF52 00FFFFFF
	s_cmp_lt_u32 s82, s66                                      // 0000000079A4: BF0A4252
	s_cselect_b32 s21, s36, s60                                // 0000000079A8: 85153C24
	s_mov_b64 exec, s[20:21]                                   // 0000000079AC: BEFE0114
	global_atomic_add_f32 v6, v93, s[8:9]                      // 0000000079B0: DD348000 00085D06
	s_mov_b64 exec, s[36:37]                                   // 0000000079B8: BEFE0124
	v_mov_b32_e32 v6, v70                                      // 0000000079BC: 7E0C0346
	s_mov_b64 s[60:61], 0                                      // 0000000079C0: BEBC0180
	v_readlane_b32 s82, v3, 8                                  // 0000000079C4: D2890052 00011103
	s_and_b32 s82, s82, 0xffffff                               // 0000000079CC: 8652FF52 00FFFFFF
	s_cmp_lt_u32 s82, s66                                      // 0000000079D4: BF0A4252
	s_cselect_b32 s20, s36, s60                                // 0000000079D8: 85143C24
	v_readlane_b32 s82, v3, 9                                  // 0000000079DC: D2890052 00011303
	s_and_b32 s82, s82, 0xffffff                               // 0000000079E4: 8652FF52 00FFFFFF
	s_cmp_lt_u32 s82, s66                                      // 0000000079EC: BF0A4252
	s_cselect_b32 s21, s36, s60                                // 0000000079F0: 85153C24
	s_mov_b64 exec, s[20:21]                                   // 0000000079F4: BEFE0114
	global_atomic_add_f32 v6, v96, s[8:9]                      // 0000000079F8: DD348000 00086006
	s_mov_b64 exec, s[36:37]                                   // 000000007A00: BEFE0124
	v_mov_b32_e32 v6, v71                                      // 000000007A04: 7E0C0347
	s_mov_b64 s[60:61], 0                                      // 000000007A08: BEBC0180
	v_readlane_b32 s82, v3, 10                                 // 000000007A0C: D2890052 00011503
	s_and_b32 s82, s82, 0xffffff                               // 000000007A14: 8652FF52 00FFFFFF
	s_cmp_lt_u32 s82, s66                                      // 000000007A1C: BF0A4252
	s_cselect_b32 s20, s36, s60                                // 000000007A20: 85143C24
	v_readlane_b32 s82, v3, 11                                 // 000000007A24: D2890052 00011703
	s_and_b32 s82, s82, 0xffffff                               // 000000007A2C: 8652FF52 00FFFFFF
	s_cmp_lt_u32 s82, s66                                      // 000000007A34: BF0A4252
	s_cselect_b32 s21, s36, s60                                // 000000007A38: 85153C24
	s_mov_b64 exec, s[20:21]                                   // 000000007A3C: BEFE0114
	global_atomic_add_f32 v6, v97, s[8:9]                      // 000000007A40: DD348000 00086106
	s_mov_b64 exec, s[36:37]                                   // 000000007A48: BEFE0124
	v_mov_b32_e32 v6, v72                                      // 000000007A4C: 7E0C0348
	s_mov_b64 s[60:61], 0                                      // 000000007A50: BEBC0180
	v_readlane_b32 s82, v3, 12                                 // 000000007A54: D2890052 00011903
	s_and_b32 s82, s82, 0xffffff                               // 000000007A5C: 8652FF52 00FFFFFF
	s_cmp_lt_u32 s82, s66                                      // 000000007A64: BF0A4252
	s_cselect_b32 s20, s36, s60                                // 000000007A68: 85143C24
	v_readlane_b32 s82, v3, 13                                 // 000000007A6C: D2890052 00011B03
	s_and_b32 s82, s82, 0xffffff                               // 000000007A74: 8652FF52 00FFFFFF
	s_cmp_lt_u32 s82, s66                                      // 000000007A7C: BF0A4252
	s_cselect_b32 s21, s36, s60                                // 000000007A80: 85153C24
	s_mov_b64 exec, s[20:21]                                   // 000000007A84: BEFE0114
	global_atomic_add_f32 v6, v100, s[8:9]                     // 000000007A88: DD348000 00086406
	s_mov_b64 exec, s[36:37]                                   // 000000007A90: BEFE0124
	v_mov_b32_e32 v6, v73                                      // 000000007A94: 7E0C0349
	s_mov_b64 s[60:61], 0                                      // 000000007A98: BEBC0180
	v_readlane_b32 s82, v3, 14                                 // 000000007A9C: D2890052 00011D03
	s_and_b32 s82, s82, 0xffffff                               // 000000007AA4: 8652FF52 00FFFFFF
	s_cmp_lt_u32 s82, s66                                      // 000000007AAC: BF0A4252
	s_cselect_b32 s20, s36, s60                                // 000000007AB0: 85143C24
	v_readlane_b32 s82, v3, 15                                 // 000000007AB4: D2890052 00011F03
	s_and_b32 s82, s82, 0xffffff                               // 000000007ABC: 8652FF52 00FFFFFF
	s_cmp_lt_u32 s82, s66                                      // 000000007AC4: BF0A4252
	s_cselect_b32 s21, s36, s60                                // 000000007AC8: 85153C24
	s_mov_b64 exec, s[20:21]                                   // 000000007ACC: BEFE0114
	global_atomic_add_f32 v6, v101, s[8:9]                     // 000000007AD0: DD348000 00086506
	s_mov_b64 exec, s[36:37]                                   // 000000007AD8: BEFE0124
	v_mov_b32_e32 v6, v74                                      // 000000007ADC: 7E0C034A
	s_mov_b64 s[60:61], 0                                      // 000000007AE0: BEBC0180
	v_readlane_b32 s82, v3, 16                                 // 000000007AE4: D2890052 00012103
	s_and_b32 s82, s82, 0xffffff                               // 000000007AEC: 8652FF52 00FFFFFF
	s_cmp_lt_u32 s82, s66                                      // 000000007AF4: BF0A4252
	s_cselect_b32 s20, s36, s60                                // 000000007AF8: 85143C24
	v_readlane_b32 s82, v3, 17                                 // 000000007AFC: D2890052 00012303
	s_and_b32 s82, s82, 0xffffff                               // 000000007B04: 8652FF52 00FFFFFF
	s_cmp_lt_u32 s82, s66                                      // 000000007B0C: BF0A4252
	s_cselect_b32 s21, s36, s60                                // 000000007B10: 85153C24
	s_mov_b64 exec, s[20:21]                                   // 000000007B14: BEFE0114
	global_atomic_add_f32 v6, v104, s[8:9]                     // 000000007B18: DD348000 00086806
	s_mov_b64 exec, s[36:37]                                   // 000000007B20: BEFE0124
	v_mov_b32_e32 v6, v75                                      // 000000007B24: 7E0C034B
	s_mov_b64 s[60:61], 0                                      // 000000007B28: BEBC0180
	v_readlane_b32 s82, v3, 18                                 // 000000007B2C: D2890052 00012503
	s_and_b32 s82, s82, 0xffffff                               // 000000007B34: 8652FF52 00FFFFFF
	s_cmp_lt_u32 s82, s66                                      // 000000007B3C: BF0A4252
	s_cselect_b32 s20, s36, s60                                // 000000007B40: 85143C24
	v_readlane_b32 s82, v3, 19                                 // 000000007B44: D2890052 00012703
	s_and_b32 s82, s82, 0xffffff                               // 000000007B4C: 8652FF52 00FFFFFF
	s_cmp_lt_u32 s82, s66                                      // 000000007B54: BF0A4252
	s_cselect_b32 s21, s36, s60                                // 000000007B58: 85153C24
	s_mov_b64 exec, s[20:21]                                   // 000000007B5C: BEFE0114
	global_atomic_add_f32 v6, v105, s[8:9]                     // 000000007B60: DD348000 00086906
	s_mov_b64 exec, s[36:37]                                   // 000000007B68: BEFE0124
	v_mov_b32_e32 v6, v76                                      // 000000007B6C: 7E0C034C
	s_mov_b64 s[60:61], 0                                      // 000000007B70: BEBC0180
	v_readlane_b32 s82, v3, 20                                 // 000000007B74: D2890052 00012903
	s_and_b32 s82, s82, 0xffffff                               // 000000007B7C: 8652FF52 00FFFFFF
	s_cmp_lt_u32 s82, s66                                      // 000000007B84: BF0A4252
	s_cselect_b32 s20, s36, s60                                // 000000007B88: 85143C24
	v_readlane_b32 s82, v3, 21                                 // 000000007B8C: D2890052 00012B03
	s_and_b32 s82, s82, 0xffffff                               // 000000007B94: 8652FF52 00FFFFFF
	s_cmp_lt_u32 s82, s66                                      // 000000007B9C: BF0A4252
	s_cselect_b32 s21, s36, s60                                // 000000007BA0: 85153C24
	s_mov_b64 exec, s[20:21]                                   // 000000007BA4: BEFE0114
	global_atomic_add_f32 v6, v108, s[8:9]                     // 000000007BA8: DD348000 00086C06
	s_mov_b64 exec, s[36:37]                                   // 000000007BB0: BEFE0124
	v_mov_b32_e32 v6, v77                                      // 000000007BB4: 7E0C034D
	s_mov_b64 s[60:61], 0                                      // 000000007BB8: BEBC0180
	v_readlane_b32 s82, v3, 22                                 // 000000007BBC: D2890052 00012D03
	s_and_b32 s82, s82, 0xffffff                               // 000000007BC4: 8652FF52 00FFFFFF
	s_cmp_lt_u32 s82, s66                                      // 000000007BCC: BF0A4252
	s_cselect_b32 s20, s36, s60                                // 000000007BD0: 85143C24
	v_readlane_b32 s82, v3, 23                                 // 000000007BD4: D2890052 00012F03
	s_and_b32 s82, s82, 0xffffff                               // 000000007BDC: 8652FF52 00FFFFFF
	s_cmp_lt_u32 s82, s66                                      // 000000007BE4: BF0A4252
	s_cselect_b32 s21, s36, s60                                // 000000007BE8: 85153C24
	s_mov_b64 exec, s[20:21]                                   // 000000007BEC: BEFE0114
	global_atomic_add_f32 v6, v109, s[8:9]                     // 000000007BF0: DD348000 00086D06
	s_mov_b64 exec, s[36:37]                                   // 000000007BF8: BEFE0124
	v_mov_b32_e32 v6, v78                                      // 000000007BFC: 7E0C034E
	s_mov_b64 s[60:61], 0                                      // 000000007C00: BEBC0180
	v_readlane_b32 s82, v3, 24                                 // 000000007C04: D2890052 00013103
	s_and_b32 s82, s82, 0xffffff                               // 000000007C0C: 8652FF52 00FFFFFF
	s_cmp_lt_u32 s82, s66                                      // 000000007C14: BF0A4252
	s_cselect_b32 s20, s36, s60                                // 000000007C18: 85143C24
	v_readlane_b32 s82, v3, 25                                 // 000000007C1C: D2890052 00013303
	s_and_b32 s82, s82, 0xffffff                               // 000000007C24: 8652FF52 00FFFFFF
	s_cmp_lt_u32 s82, s66                                      // 000000007C2C: BF0A4252
	s_cselect_b32 s21, s36, s60                                // 000000007C30: 85153C24
	s_mov_b64 exec, s[20:21]                                   // 000000007C34: BEFE0114
	global_atomic_add_f32 v6, v112, s[8:9]                     // 000000007C38: DD348000 00087006
	s_mov_b64 exec, s[36:37]                                   // 000000007C40: BEFE0124
	v_mov_b32_e32 v6, v79                                      // 000000007C44: 7E0C034F
	s_mov_b64 s[60:61], 0                                      // 000000007C48: BEBC0180
	v_readlane_b32 s82, v3, 26                                 // 000000007C4C: D2890052 00013503
	s_and_b32 s82, s82, 0xffffff                               // 000000007C54: 8652FF52 00FFFFFF
	s_cmp_lt_u32 s82, s66                                      // 000000007C5C: BF0A4252
	s_cselect_b32 s20, s36, s60                                // 000000007C60: 85143C24
	v_readlane_b32 s82, v3, 27                                 // 000000007C64: D2890052 00013703
	s_and_b32 s82, s82, 0xffffff                               // 000000007C6C: 8652FF52 00FFFFFF
	s_cmp_lt_u32 s82, s66                                      // 000000007C74: BF0A4252
	s_cselect_b32 s21, s36, s60                                // 000000007C78: 85153C24
	s_mov_b64 exec, s[20:21]                                   // 000000007C7C: BEFE0114
	global_atomic_add_f32 v6, v113, s[8:9]                     // 000000007C80: DD348000 00087106
	s_mov_b64 exec, s[36:37]                                   // 000000007C88: BEFE0124
	v_mov_b32_e32 v6, v80                                      // 000000007C8C: 7E0C0350
	s_mov_b64 s[60:61], 0                                      // 000000007C90: BEBC0180
	v_readlane_b32 s82, v3, 28                                 // 000000007C94: D2890052 00013903
	s_and_b32 s82, s82, 0xffffff                               // 000000007C9C: 8652FF52 00FFFFFF
	s_cmp_lt_u32 s82, s66                                      // 000000007CA4: BF0A4252
	s_cselect_b32 s20, s36, s60                                // 000000007CA8: 85143C24
	v_readlane_b32 s82, v3, 29                                 // 000000007CAC: D2890052 00013B03
	s_and_b32 s82, s82, 0xffffff                               // 000000007CB4: 8652FF52 00FFFFFF
	s_cmp_lt_u32 s82, s66                                      // 000000007CBC: BF0A4252
	s_cselect_b32 s21, s36, s60                                // 000000007CC0: 85153C24
	s_mov_b64 exec, s[20:21]                                   // 000000007CC4: BEFE0114
	global_atomic_add_f32 v6, v116, s[8:9]                     // 000000007CC8: DD348000 00087406
	s_mov_b64 exec, s[36:37]                                   // 000000007CD0: BEFE0124
	v_mov_b32_e32 v6, v81                                      // 000000007CD4: 7E0C0351
	s_mov_b64 s[60:61], 0                                      // 000000007CD8: BEBC0180
	v_readlane_b32 s82, v3, 30                                 // 000000007CDC: D2890052 00013D03
	s_and_b32 s82, s82, 0xffffff                               // 000000007CE4: 8652FF52 00FFFFFF
	s_cmp_lt_u32 s82, s66                                      // 000000007CEC: BF0A4252
	s_cselect_b32 s20, s36, s60                                // 000000007CF0: 85143C24
	v_readlane_b32 s82, v3, 31                                 // 000000007CF4: D2890052 00013F03
	s_and_b32 s82, s82, 0xffffff                               // 000000007CFC: 8652FF52 00FFFFFF
	s_cmp_lt_u32 s82, s66                                      // 000000007D04: BF0A4252
	s_cselect_b32 s21, s36, s60                                // 000000007D08: 85153C24
	s_mov_b64 exec, s[20:21]                                   // 000000007D0C: BEFE0114
	global_atomic_add_f32 v6, v117, s[8:9]                     // 000000007D10: DD348000 00087506
	s_mov_b64 exec, s[36:37]                                   // 000000007D18: BEFE0124
	v_mov_b32_e32 v6, v82                                      // 000000007D1C: 7E0C0352
	s_mov_b64 s[60:61], 0                                      // 000000007D20: BEBC0180
	v_readlane_b32 s82, v3, 32                                 // 000000007D24: D2890052 00014103
	s_and_b32 s82, s82, 0xffffff                               // 000000007D2C: 8652FF52 00FFFFFF
	s_cmp_lt_u32 s82, s66                                      // 000000007D34: BF0A4252
	s_cselect_b32 s20, s36, s60                                // 000000007D38: 85143C24
	v_readlane_b32 s82, v3, 33                                 // 000000007D3C: D2890052 00014303
	s_and_b32 s82, s82, 0xffffff                               // 000000007D44: 8652FF52 00FFFFFF
	s_cmp_lt_u32 s82, s66                                      // 000000007D4C: BF0A4252
	s_cselect_b32 s21, s36, s60                                // 000000007D50: 85153C24
	s_mov_b64 exec, s[20:21]                                   // 000000007D54: BEFE0114
	global_atomic_add_f32 v6, v120, s[8:9]                     // 000000007D58: DD348000 00087806
	s_mov_b64 exec, s[36:37]                                   // 000000007D60: BEFE0124
	v_mov_b32_e32 v6, v83                                      // 000000007D64: 7E0C0353
	s_mov_b64 s[60:61], 0                                      // 000000007D68: BEBC0180
	v_readlane_b32 s82, v3, 34                                 // 000000007D6C: D2890052 00014503
	s_and_b32 s82, s82, 0xffffff                               // 000000007D74: 8652FF52 00FFFFFF
	s_cmp_lt_u32 s82, s66                                      // 000000007D7C: BF0A4252
	s_cselect_b32 s20, s36, s60                                // 000000007D80: 85143C24
	v_readlane_b32 s82, v3, 35                                 // 000000007D84: D2890052 00014703
	s_and_b32 s82, s82, 0xffffff                               // 000000007D8C: 8652FF52 00FFFFFF
	s_cmp_lt_u32 s82, s66                                      // 000000007D94: BF0A4252
	s_cselect_b32 s21, s36, s60                                // 000000007D98: 85153C24
	s_mov_b64 exec, s[20:21]                                   // 000000007D9C: BEFE0114
	global_atomic_add_f32 v6, v121, s[8:9]                     // 000000007DA0: DD348000 00087906
	s_mov_b64 exec, s[36:37]                                   // 000000007DA8: BEFE0124
	ds_write_b64 v20, v[90:91]                                 // 000000007DAC: D89A0000 00005A14
	ds_write_b64 v20, v[94:95] offset:2176                     // 000000007DB4: D89A0880 00005E14
	ds_write_b64 v20, v[98:99] offset:4352                     // 000000007DBC: D89A1100 00006214
	ds_write_b64 v20, v[102:103] offset:6528                   // 000000007DC4: D89A1980 00006614
	ds_write_b64 v20, v[106:107] offset:8704                   // 000000007DCC: D89A2200 00006A14
	ds_write_b64 v20, v[110:111] offset:10880                  // 000000007DD4: D89A2A80 00006E14
	ds_write_b64 v20, v[114:115] offset:13056                  // 000000007DDC: D89A3300 00007214
	ds_write_b64 v20, v[118:119] offset:15232                  // 000000007DE4: D89A3B80 00007614
	ds_write_b64 v20, v[122:123] offset:17408                  // 000000007DEC: D89A4400 00007A14
	s_waitcnt lgkmcnt(0)                                       // 000000007DF4: BF8CC07F
	s_barrier                                                  // 000000007DF8: BF8A0000
	ds_read_b32 v90, v21                                       // 000000007DFC: D86C0000 5A000015
	ds_read_b32 v91, v21 offset:64                             // 000000007E04: D86C0040 5B000015
	ds_read_b32 v94, v21 offset:2176                           // 000000007E0C: D86C0880 5E000015
	ds_read_b32 v95, v21 offset:2240                           // 000000007E14: D86C08C0 5F000015
	ds_read_b32 v98, v21 offset:4352                           // 000000007E1C: D86C1100 62000015
	ds_read_b32 v99, v21 offset:4416                           // 000000007E24: D86C1140 63000015
	ds_read_b32 v102, v21 offset:6528                          // 000000007E2C: D86C1980 66000015
	ds_read_b32 v103, v21 offset:6592                          // 000000007E34: D86C19C0 67000015
	ds_read_b32 v106, v21 offset:8704                          // 000000007E3C: D86C2200 6A000015
	ds_read_b32 v107, v21 offset:8768                          // 000000007E44: D86C2240 6B000015
	ds_read_b32 v110, v21 offset:10880                         // 000000007E4C: D86C2A80 6E000015
	ds_read_b32 v111, v21 offset:10944                         // 000000007E54: D86C2AC0 6F000015
	ds_read_b32 v114, v21 offset:13056                         // 000000007E5C: D86C3300 72000015
	ds_read_b32 v115, v21 offset:13120                         // 000000007E64: D86C3340 73000015
	ds_read_b32 v118, v21 offset:15232                         // 000000007E6C: D86C3B80 76000015
	ds_read_b32 v119, v21 offset:15296                         // 000000007E74: D86C3BC0 77000015
	ds_read_b32 v122, v21 offset:17408                         // 000000007E7C: D86C4400 7A000015
	ds_read_b32 v123, v21 offset:17472                         // 000000007E84: D86C4440 7B000015
	s_waitcnt lgkmcnt(0)                                       // 000000007E8C: BF8CC07F
	v_mov_b32_e32 v7, 0                                        // 000000007E90: 7E0E0280
	s_mov_b64 exec, s[36:37]                                   // 000000007E94: BEFE0124
	v_mov_b32_e32 v6, v66                                      // 000000007E98: 7E0C0342
	s_mov_b64 s[60:61], 0                                      // 000000007E9C: BEBC0180
	v_readlane_b32 s82, v3, 0                                  // 000000007EA0: D2890052 00010103
	s_and_b32 s82, s82, 0xffffff                               // 000000007EA8: 8652FF52 00FFFFFF
	s_cmp_lt_u32 s82, s66                                      // 000000007EB0: BF0A4252
	s_cselect_b32 s20, s36, s60                                // 000000007EB4: 85143C24
	v_readlane_b32 s82, v3, 1                                  // 000000007EB8: D2890052 00010303
	s_and_b32 s82, s82, 0xffffff                               // 000000007EC0: 8652FF52 00FFFFFF
	s_cmp_lt_u32 s82, s66                                      // 000000007EC8: BF0A4252
	s_cselect_b32 s21, s36, s60                                // 000000007ECC: 85153C24
	s_mov_b64 exec, s[20:21]                                   // 000000007ED0: BEFE0114
	global_atomic_add_f32 v6, v90, s[8:9] offset:8             // 000000007ED4: DD348008 00085A06
	s_mov_b64 exec, s[36:37]                                   // 000000007EDC: BEFE0124
	v_mov_b32_e32 v6, v67                                      // 000000007EE0: 7E0C0343
	s_mov_b64 s[60:61], 0                                      // 000000007EE4: BEBC0180
	v_readlane_b32 s82, v3, 2                                  // 000000007EE8: D2890052 00010503
	s_and_b32 s82, s82, 0xffffff                               // 000000007EF0: 8652FF52 00FFFFFF
	s_cmp_lt_u32 s82, s66                                      // 000000007EF8: BF0A4252
	s_cselect_b32 s20, s36, s60                                // 000000007EFC: 85143C24
	v_readlane_b32 s82, v3, 3                                  // 000000007F00: D2890052 00010703
	s_and_b32 s82, s82, 0xffffff                               // 000000007F08: 8652FF52 00FFFFFF
	s_cmp_lt_u32 s82, s66                                      // 000000007F10: BF0A4252
	s_cselect_b32 s21, s36, s60                                // 000000007F14: 85153C24
	s_mov_b64 exec, s[20:21]                                   // 000000007F18: BEFE0114
	global_atomic_add_f32 v6, v91, s[8:9] offset:8             // 000000007F1C: DD348008 00085B06
	s_mov_b64 exec, s[36:37]                                   // 000000007F24: BEFE0124
	v_mov_b32_e32 v6, v68                                      // 000000007F28: 7E0C0344
	s_mov_b64 s[60:61], 0                                      // 000000007F2C: BEBC0180
	v_readlane_b32 s82, v3, 4                                  // 000000007F30: D2890052 00010903
	s_and_b32 s82, s82, 0xffffff                               // 000000007F38: 8652FF52 00FFFFFF
	s_cmp_lt_u32 s82, s66                                      // 000000007F40: BF0A4252
	s_cselect_b32 s20, s36, s60                                // 000000007F44: 85143C24
	v_readlane_b32 s82, v3, 5                                  // 000000007F48: D2890052 00010B03
	s_and_b32 s82, s82, 0xffffff                               // 000000007F50: 8652FF52 00FFFFFF
	s_cmp_lt_u32 s82, s66                                      // 000000007F58: BF0A4252
	s_cselect_b32 s21, s36, s60                                // 000000007F5C: 85153C24
	s_mov_b64 exec, s[20:21]                                   // 000000007F60: BEFE0114
	global_atomic_add_f32 v6, v94, s[8:9] offset:8             // 000000007F64: DD348008 00085E06
	s_mov_b64 exec, s[36:37]                                   // 000000007F6C: BEFE0124
	v_mov_b32_e32 v6, v69                                      // 000000007F70: 7E0C0345
	s_mov_b64 s[60:61], 0                                      // 000000007F74: BEBC0180
	v_readlane_b32 s82, v3, 6                                  // 000000007F78: D2890052 00010D03
	s_and_b32 s82, s82, 0xffffff                               // 000000007F80: 8652FF52 00FFFFFF
	s_cmp_lt_u32 s82, s66                                      // 000000007F88: BF0A4252
	s_cselect_b32 s20, s36, s60                                // 000000007F8C: 85143C24
	v_readlane_b32 s82, v3, 7                                  // 000000007F90: D2890052 00010F03
	s_and_b32 s82, s82, 0xffffff                               // 000000007F98: 8652FF52 00FFFFFF
	s_cmp_lt_u32 s82, s66                                      // 000000007FA0: BF0A4252
	s_cselect_b32 s21, s36, s60                                // 000000007FA4: 85153C24
	s_mov_b64 exec, s[20:21]                                   // 000000007FA8: BEFE0114
	global_atomic_add_f32 v6, v95, s[8:9] offset:8             // 000000007FAC: DD348008 00085F06
	s_mov_b64 exec, s[36:37]                                   // 000000007FB4: BEFE0124
	v_mov_b32_e32 v6, v70                                      // 000000007FB8: 7E0C0346
	s_mov_b64 s[60:61], 0                                      // 000000007FBC: BEBC0180
	v_readlane_b32 s82, v3, 8                                  // 000000007FC0: D2890052 00011103
	s_and_b32 s82, s82, 0xffffff                               // 000000007FC8: 8652FF52 00FFFFFF
	s_cmp_lt_u32 s82, s66                                      // 000000007FD0: BF0A4252
	s_cselect_b32 s20, s36, s60                                // 000000007FD4: 85143C24
	v_readlane_b32 s82, v3, 9                                  // 000000007FD8: D2890052 00011303
	s_and_b32 s82, s82, 0xffffff                               // 000000007FE0: 8652FF52 00FFFFFF
	s_cmp_lt_u32 s82, s66                                      // 000000007FE8: BF0A4252
	s_cselect_b32 s21, s36, s60                                // 000000007FEC: 85153C24
	s_mov_b64 exec, s[20:21]                                   // 000000007FF0: BEFE0114
	global_atomic_add_f32 v6, v98, s[8:9] offset:8             // 000000007FF4: DD348008 00086206
	s_mov_b64 exec, s[36:37]                                   // 000000007FFC: BEFE0124
	v_mov_b32_e32 v6, v71                                      // 000000008000: 7E0C0347
	s_mov_b64 s[60:61], 0                                      // 000000008004: BEBC0180
	v_readlane_b32 s82, v3, 10                                 // 000000008008: D2890052 00011503
	s_and_b32 s82, s82, 0xffffff                               // 000000008010: 8652FF52 00FFFFFF
	s_cmp_lt_u32 s82, s66                                      // 000000008018: BF0A4252
	s_cselect_b32 s20, s36, s60                                // 00000000801C: 85143C24
	v_readlane_b32 s82, v3, 11                                 // 000000008020: D2890052 00011703
	s_and_b32 s82, s82, 0xffffff                               // 000000008028: 8652FF52 00FFFFFF
	s_cmp_lt_u32 s82, s66                                      // 000000008030: BF0A4252
	s_cselect_b32 s21, s36, s60                                // 000000008034: 85153C24
	s_mov_b64 exec, s[20:21]                                   // 000000008038: BEFE0114
	global_atomic_add_f32 v6, v99, s[8:9] offset:8             // 00000000803C: DD348008 00086306
	s_mov_b64 exec, s[36:37]                                   // 000000008044: BEFE0124
	v_mov_b32_e32 v6, v72                                      // 000000008048: 7E0C0348
	s_mov_b64 s[60:61], 0                                      // 00000000804C: BEBC0180
	v_readlane_b32 s82, v3, 12                                 // 000000008050: D2890052 00011903
	s_and_b32 s82, s82, 0xffffff                               // 000000008058: 8652FF52 00FFFFFF
	s_cmp_lt_u32 s82, s66                                      // 000000008060: BF0A4252
	s_cselect_b32 s20, s36, s60                                // 000000008064: 85143C24
	v_readlane_b32 s82, v3, 13                                 // 000000008068: D2890052 00011B03
	s_and_b32 s82, s82, 0xffffff                               // 000000008070: 8652FF52 00FFFFFF
	s_cmp_lt_u32 s82, s66                                      // 000000008078: BF0A4252
	s_cselect_b32 s21, s36, s60                                // 00000000807C: 85153C24
	s_mov_b64 exec, s[20:21]                                   // 000000008080: BEFE0114
	global_atomic_add_f32 v6, v102, s[8:9] offset:8            // 000000008084: DD348008 00086606
	s_mov_b64 exec, s[36:37]                                   // 00000000808C: BEFE0124
	v_mov_b32_e32 v6, v73                                      // 000000008090: 7E0C0349
	s_mov_b64 s[60:61], 0                                      // 000000008094: BEBC0180
	v_readlane_b32 s82, v3, 14                                 // 000000008098: D2890052 00011D03
	s_and_b32 s82, s82, 0xffffff                               // 0000000080A0: 8652FF52 00FFFFFF
	s_cmp_lt_u32 s82, s66                                      // 0000000080A8: BF0A4252
	s_cselect_b32 s20, s36, s60                                // 0000000080AC: 85143C24
	v_readlane_b32 s82, v3, 15                                 // 0000000080B0: D2890052 00011F03
	s_and_b32 s82, s82, 0xffffff                               // 0000000080B8: 8652FF52 00FFFFFF
	s_cmp_lt_u32 s82, s66                                      // 0000000080C0: BF0A4252
	s_cselect_b32 s21, s36, s60                                // 0000000080C4: 85153C24
	s_mov_b64 exec, s[20:21]                                   // 0000000080C8: BEFE0114
	global_atomic_add_f32 v6, v103, s[8:9] offset:8            // 0000000080CC: DD348008 00086706
	s_mov_b64 exec, s[36:37]                                   // 0000000080D4: BEFE0124
	v_mov_b32_e32 v6, v74                                      // 0000000080D8: 7E0C034A
	s_mov_b64 s[60:61], 0                                      // 0000000080DC: BEBC0180
	v_readlane_b32 s82, v3, 16                                 // 0000000080E0: D2890052 00012103
	s_and_b32 s82, s82, 0xffffff                               // 0000000080E8: 8652FF52 00FFFFFF
	s_cmp_lt_u32 s82, s66                                      // 0000000080F0: BF0A4252
	s_cselect_b32 s20, s36, s60                                // 0000000080F4: 85143C24
	v_readlane_b32 s82, v3, 17                                 // 0000000080F8: D2890052 00012303
	s_and_b32 s82, s82, 0xffffff                               // 000000008100: 8652FF52 00FFFFFF
	s_cmp_lt_u32 s82, s66                                      // 000000008108: BF0A4252
	s_cselect_b32 s21, s36, s60                                // 00000000810C: 85153C24
	s_mov_b64 exec, s[20:21]                                   // 000000008110: BEFE0114
	global_atomic_add_f32 v6, v106, s[8:9] offset:8            // 000000008114: DD348008 00086A06
	s_mov_b64 exec, s[36:37]                                   // 00000000811C: BEFE0124
	v_mov_b32_e32 v6, v75                                      // 000000008120: 7E0C034B
	s_mov_b64 s[60:61], 0                                      // 000000008124: BEBC0180
	v_readlane_b32 s82, v3, 18                                 // 000000008128: D2890052 00012503
	s_and_b32 s82, s82, 0xffffff                               // 000000008130: 8652FF52 00FFFFFF
	s_cmp_lt_u32 s82, s66                                      // 000000008138: BF0A4252
	s_cselect_b32 s20, s36, s60                                // 00000000813C: 85143C24
	v_readlane_b32 s82, v3, 19                                 // 000000008140: D2890052 00012703
	s_and_b32 s82, s82, 0xffffff                               // 000000008148: 8652FF52 00FFFFFF
	s_cmp_lt_u32 s82, s66                                      // 000000008150: BF0A4252
	s_cselect_b32 s21, s36, s60                                // 000000008154: 85153C24
	s_mov_b64 exec, s[20:21]                                   // 000000008158: BEFE0114
	global_atomic_add_f32 v6, v107, s[8:9] offset:8            // 00000000815C: DD348008 00086B06
	s_mov_b64 exec, s[36:37]                                   // 000000008164: BEFE0124
	v_mov_b32_e32 v6, v76                                      // 000000008168: 7E0C034C
	s_mov_b64 s[60:61], 0                                      // 00000000816C: BEBC0180
	v_readlane_b32 s82, v3, 20                                 // 000000008170: D2890052 00012903
	s_and_b32 s82, s82, 0xffffff                               // 000000008178: 8652FF52 00FFFFFF
	s_cmp_lt_u32 s82, s66                                      // 000000008180: BF0A4252
	s_cselect_b32 s20, s36, s60                                // 000000008184: 85143C24
	v_readlane_b32 s82, v3, 21                                 // 000000008188: D2890052 00012B03
	s_and_b32 s82, s82, 0xffffff                               // 000000008190: 8652FF52 00FFFFFF
	s_cmp_lt_u32 s82, s66                                      // 000000008198: BF0A4252
	s_cselect_b32 s21, s36, s60                                // 00000000819C: 85153C24
	s_mov_b64 exec, s[20:21]                                   // 0000000081A0: BEFE0114
	global_atomic_add_f32 v6, v110, s[8:9] offset:8            // 0000000081A4: DD348008 00086E06
	s_mov_b64 exec, s[36:37]                                   // 0000000081AC: BEFE0124
	v_mov_b32_e32 v6, v77                                      // 0000000081B0: 7E0C034D
	s_mov_b64 s[60:61], 0                                      // 0000000081B4: BEBC0180
	v_readlane_b32 s82, v3, 22                                 // 0000000081B8: D2890052 00012D03
	s_and_b32 s82, s82, 0xffffff                               // 0000000081C0: 8652FF52 00FFFFFF
	s_cmp_lt_u32 s82, s66                                      // 0000000081C8: BF0A4252
	s_cselect_b32 s20, s36, s60                                // 0000000081CC: 85143C24
	v_readlane_b32 s82, v3, 23                                 // 0000000081D0: D2890052 00012F03
	s_and_b32 s82, s82, 0xffffff                               // 0000000081D8: 8652FF52 00FFFFFF
	s_cmp_lt_u32 s82, s66                                      // 0000000081E0: BF0A4252
	s_cselect_b32 s21, s36, s60                                // 0000000081E4: 85153C24
	s_mov_b64 exec, s[20:21]                                   // 0000000081E8: BEFE0114
	global_atomic_add_f32 v6, v111, s[8:9] offset:8            // 0000000081EC: DD348008 00086F06
	s_mov_b64 exec, s[36:37]                                   // 0000000081F4: BEFE0124
	v_mov_b32_e32 v6, v78                                      // 0000000081F8: 7E0C034E
	s_mov_b64 s[60:61], 0                                      // 0000000081FC: BEBC0180
	v_readlane_b32 s82, v3, 24                                 // 000000008200: D2890052 00013103
	s_and_b32 s82, s82, 0xffffff                               // 000000008208: 8652FF52 00FFFFFF
	s_cmp_lt_u32 s82, s66                                      // 000000008210: BF0A4252
	s_cselect_b32 s20, s36, s60                                // 000000008214: 85143C24
	v_readlane_b32 s82, v3, 25                                 // 000000008218: D2890052 00013303
	s_and_b32 s82, s82, 0xffffff                               // 000000008220: 8652FF52 00FFFFFF
	s_cmp_lt_u32 s82, s66                                      // 000000008228: BF0A4252
	s_cselect_b32 s21, s36, s60                                // 00000000822C: 85153C24
	s_mov_b64 exec, s[20:21]                                   // 000000008230: BEFE0114
	global_atomic_add_f32 v6, v114, s[8:9] offset:8            // 000000008234: DD348008 00087206
	s_mov_b64 exec, s[36:37]                                   // 00000000823C: BEFE0124
	v_mov_b32_e32 v6, v79                                      // 000000008240: 7E0C034F
	s_mov_b64 s[60:61], 0                                      // 000000008244: BEBC0180
	v_readlane_b32 s82, v3, 26                                 // 000000008248: D2890052 00013503
	s_and_b32 s82, s82, 0xffffff                               // 000000008250: 8652FF52 00FFFFFF
	s_cmp_lt_u32 s82, s66                                      // 000000008258: BF0A4252
	s_cselect_b32 s20, s36, s60                                // 00000000825C: 85143C24
	v_readlane_b32 s82, v3, 27                                 // 000000008260: D2890052 00013703
	s_and_b32 s82, s82, 0xffffff                               // 000000008268: 8652FF52 00FFFFFF
	s_cmp_lt_u32 s82, s66                                      // 000000008270: BF0A4252
	s_cselect_b32 s21, s36, s60                                // 000000008274: 85153C24
	s_mov_b64 exec, s[20:21]                                   // 000000008278: BEFE0114
	global_atomic_add_f32 v6, v115, s[8:9] offset:8            // 00000000827C: DD348008 00087306
	s_mov_b64 exec, s[36:37]                                   // 000000008284: BEFE0124
	v_mov_b32_e32 v6, v80                                      // 000000008288: 7E0C0350
	s_mov_b64 s[60:61], 0                                      // 00000000828C: BEBC0180
	v_readlane_b32 s82, v3, 28                                 // 000000008290: D2890052 00013903
	s_and_b32 s82, s82, 0xffffff                               // 000000008298: 8652FF52 00FFFFFF
	s_cmp_lt_u32 s82, s66                                      // 0000000082A0: BF0A4252
	s_cselect_b32 s20, s36, s60                                // 0000000082A4: 85143C24
	v_readlane_b32 s82, v3, 29                                 // 0000000082A8: D2890052 00013B03
	s_and_b32 s82, s82, 0xffffff                               // 0000000082B0: 8652FF52 00FFFFFF
	s_cmp_lt_u32 s82, s66                                      // 0000000082B8: BF0A4252
	s_cselect_b32 s21, s36, s60                                // 0000000082BC: 85153C24
	s_mov_b64 exec, s[20:21]                                   // 0000000082C0: BEFE0114
	global_atomic_add_f32 v6, v118, s[8:9] offset:8            // 0000000082C4: DD348008 00087606
	s_mov_b64 exec, s[36:37]                                   // 0000000082CC: BEFE0124
	v_mov_b32_e32 v6, v81                                      // 0000000082D0: 7E0C0351
	s_mov_b64 s[60:61], 0                                      // 0000000082D4: BEBC0180
	v_readlane_b32 s82, v3, 30                                 // 0000000082D8: D2890052 00013D03
	s_and_b32 s82, s82, 0xffffff                               // 0000000082E0: 8652FF52 00FFFFFF
	s_cmp_lt_u32 s82, s66                                      // 0000000082E8: BF0A4252
	s_cselect_b32 s20, s36, s60                                // 0000000082EC: 85143C24
	v_readlane_b32 s82, v3, 31                                 // 0000000082F0: D2890052 00013F03
	s_and_b32 s82, s82, 0xffffff                               // 0000000082F8: 8652FF52 00FFFFFF
	s_cmp_lt_u32 s82, s66                                      // 000000008300: BF0A4252
	s_cselect_b32 s21, s36, s60                                // 000000008304: 85153C24
	s_mov_b64 exec, s[20:21]                                   // 000000008308: BEFE0114
	global_atomic_add_f32 v6, v119, s[8:9] offset:8            // 00000000830C: DD348008 00087706
	s_mov_b64 exec, s[36:37]                                   // 000000008314: BEFE0124
	v_mov_b32_e32 v6, v82                                      // 000000008318: 7E0C0352
	s_mov_b64 s[60:61], 0                                      // 00000000831C: BEBC0180
	v_readlane_b32 s82, v3, 32                                 // 000000008320: D2890052 00014103
	s_and_b32 s82, s82, 0xffffff                               // 000000008328: 8652FF52 00FFFFFF
	s_cmp_lt_u32 s82, s66                                      // 000000008330: BF0A4252
	s_cselect_b32 s20, s36, s60                                // 000000008334: 85143C24
	v_readlane_b32 s82, v3, 33                                 // 000000008338: D2890052 00014303
	s_and_b32 s82, s82, 0xffffff                               // 000000008340: 8652FF52 00FFFFFF
	s_cmp_lt_u32 s82, s66                                      // 000000008348: BF0A4252
	s_cselect_b32 s21, s36, s60                                // 00000000834C: 85153C24
	s_mov_b64 exec, s[20:21]                                   // 000000008350: BEFE0114
	global_atomic_add_f32 v6, v122, s[8:9] offset:8            // 000000008354: DD348008 00087A06
	s_mov_b64 exec, s[36:37]                                   // 00000000835C: BEFE0124
	v_mov_b32_e32 v6, v83                                      // 000000008360: 7E0C0353
	s_mov_b64 s[60:61], 0                                      // 000000008364: BEBC0180
	v_readlane_b32 s82, v3, 34                                 // 000000008368: D2890052 00014503
	s_and_b32 s82, s82, 0xffffff                               // 000000008370: 8652FF52 00FFFFFF
	s_cmp_lt_u32 s82, s66                                      // 000000008378: BF0A4252
	s_cselect_b32 s20, s36, s60                                // 00000000837C: 85143C24
	v_readlane_b32 s82, v3, 35                                 // 000000008380: D2890052 00014703
	s_and_b32 s82, s82, 0xffffff                               // 000000008388: 8652FF52 00FFFFFF
	s_cmp_lt_u32 s82, s66                                      // 000000008390: BF0A4252
	s_cselect_b32 s21, s36, s60                                // 000000008394: 85153C24
	s_mov_b64 exec, s[20:21]                                   // 000000008398: BEFE0114
	global_atomic_add_f32 v6, v123, s[8:9] offset:8            // 00000000839C: DD348008 00087B06
	s_mov_b64 exec, s[36:37]                                   // 0000000083A4: BEFE0124
	ds_write_b64 v20, v[124:125]                               // 0000000083A8: D89A0000 00007C14
	ds_write_b64 v20, v[128:129] offset:2176                   // 0000000083B0: D89A0880 00008014
	ds_write_b64 v20, v[132:133] offset:4352                   // 0000000083B8: D89A1100 00008414
	ds_write_b64 v20, v[136:137] offset:6528                   // 0000000083C0: D89A1980 00008814
	ds_write_b64 v20, v[140:141] offset:8704                   // 0000000083C8: D89A2200 00008C14
	ds_write_b64 v20, v[144:145] offset:10880                  // 0000000083D0: D89A2A80 00009014
	ds_write_b64 v20, v[148:149] offset:13056                  // 0000000083D8: D89A3300 00009414
	ds_write_b64 v20, v[152:153] offset:15232                  // 0000000083E0: D89A3B80 00009814
	ds_write_b64 v20, v[156:157] offset:17408                  // 0000000083E8: D89A4400 00009C14
	s_waitcnt lgkmcnt(0)                                       // 0000000083F0: BF8CC07F
	s_barrier                                                  // 0000000083F4: BF8A0000
	ds_read_b32 v124, v21                                      // 0000000083F8: D86C0000 7C000015
	ds_read_b32 v125, v21 offset:64                            // 000000008400: D86C0040 7D000015
	ds_read_b32 v128, v21 offset:2176                          // 000000008408: D86C0880 80000015
	ds_read_b32 v129, v21 offset:2240                          // 000000008410: D86C08C0 81000015
	ds_read_b32 v132, v21 offset:4352                          // 000000008418: D86C1100 84000015
	ds_read_b32 v133, v21 offset:4416                          // 000000008420: D86C1140 85000015
	ds_read_b32 v136, v21 offset:6528                          // 000000008428: D86C1980 88000015
	ds_read_b32 v137, v21 offset:6592                          // 000000008430: D86C19C0 89000015
	ds_read_b32 v140, v21 offset:8704                          // 000000008438: D86C2200 8C000015
	ds_read_b32 v141, v21 offset:8768                          // 000000008440: D86C2240 8D000015
	ds_read_b32 v144, v21 offset:10880                         // 000000008448: D86C2A80 90000015
	ds_read_b32 v145, v21 offset:10944                         // 000000008450: D86C2AC0 91000015
	ds_read_b32 v148, v21 offset:13056                         // 000000008458: D86C3300 94000015
	ds_read_b32 v149, v21 offset:13120                         // 000000008460: D86C3340 95000015
	ds_read_b32 v152, v21 offset:15232                         // 000000008468: D86C3B80 98000015
	ds_read_b32 v153, v21 offset:15296                         // 000000008470: D86C3BC0 99000015
	ds_read_b32 v156, v21 offset:17408                         // 000000008478: D86C4400 9C000015
	ds_read_b32 v157, v21 offset:17472                         // 000000008480: D86C4440 9D000015
	s_mul_i32 s60, s65, 4                                      // 000000008488: 923C8441
	s_add_u32 s8, s60, s8                                      // 00000000848C: 8008083C
	s_addc_u32 s9, 0, s9                                       // 000000008490: 82090980
	s_waitcnt lgkmcnt(0)                                       // 000000008494: BF8CC07F
	v_mov_b32_e32 v7, 0                                        // 000000008498: 7E0E0280
	s_mov_b64 exec, s[36:37]                                   // 00000000849C: BEFE0124
	v_mov_b32_e32 v6, v66                                      // 0000000084A0: 7E0C0342
	s_mov_b64 s[60:61], 0                                      // 0000000084A4: BEBC0180
	v_readlane_b32 s82, v3, 0                                  // 0000000084A8: D2890052 00010103
	s_and_b32 s82, s82, 0xffffff                               // 0000000084B0: 8652FF52 00FFFFFF
	s_cmp_lt_u32 s82, s66                                      // 0000000084B8: BF0A4252
	s_cselect_b32 s20, s36, s60                                // 0000000084BC: 85143C24
	v_readlane_b32 s82, v3, 1                                  // 0000000084C0: D2890052 00010303
	s_and_b32 s82, s82, 0xffffff                               // 0000000084C8: 8652FF52 00FFFFFF
	s_cmp_lt_u32 s82, s66                                      // 0000000084D0: BF0A4252
	s_cselect_b32 s21, s36, s60                                // 0000000084D4: 85153C24
	s_mov_b64 exec, s[20:21]                                   // 0000000084D8: BEFE0114
	global_atomic_add_f32 v6, v124, s[8:9]                     // 0000000084DC: DD348000 00087C06
	s_mov_b64 exec, s[36:37]                                   // 0000000084E4: BEFE0124
	v_mov_b32_e32 v6, v67                                      // 0000000084E8: 7E0C0343
	s_mov_b64 s[60:61], 0                                      // 0000000084EC: BEBC0180
	v_readlane_b32 s82, v3, 2                                  // 0000000084F0: D2890052 00010503
	s_and_b32 s82, s82, 0xffffff                               // 0000000084F8: 8652FF52 00FFFFFF
	s_cmp_lt_u32 s82, s66                                      // 000000008500: BF0A4252
	s_cselect_b32 s20, s36, s60                                // 000000008504: 85143C24
	v_readlane_b32 s82, v3, 3                                  // 000000008508: D2890052 00010703
	s_and_b32 s82, s82, 0xffffff                               // 000000008510: 8652FF52 00FFFFFF
	s_cmp_lt_u32 s82, s66                                      // 000000008518: BF0A4252
	s_cselect_b32 s21, s36, s60                                // 00000000851C: 85153C24
	s_mov_b64 exec, s[20:21]                                   // 000000008520: BEFE0114
	global_atomic_add_f32 v6, v125, s[8:9]                     // 000000008524: DD348000 00087D06
	s_mov_b64 exec, s[36:37]                                   // 00000000852C: BEFE0124
	v_mov_b32_e32 v6, v68                                      // 000000008530: 7E0C0344
	s_mov_b64 s[60:61], 0                                      // 000000008534: BEBC0180
	v_readlane_b32 s82, v3, 4                                  // 000000008538: D2890052 00010903
	s_and_b32 s82, s82, 0xffffff                               // 000000008540: 8652FF52 00FFFFFF
	s_cmp_lt_u32 s82, s66                                      // 000000008548: BF0A4252
	s_cselect_b32 s20, s36, s60                                // 00000000854C: 85143C24
	v_readlane_b32 s82, v3, 5                                  // 000000008550: D2890052 00010B03
	s_and_b32 s82, s82, 0xffffff                               // 000000008558: 8652FF52 00FFFFFF
	s_cmp_lt_u32 s82, s66                                      // 000000008560: BF0A4252
	s_cselect_b32 s21, s36, s60                                // 000000008564: 85153C24
	s_mov_b64 exec, s[20:21]                                   // 000000008568: BEFE0114
	global_atomic_add_f32 v6, v128, s[8:9]                     // 00000000856C: DD348000 00088006
	s_mov_b64 exec, s[36:37]                                   // 000000008574: BEFE0124
	v_mov_b32_e32 v6, v69                                      // 000000008578: 7E0C0345
	s_mov_b64 s[60:61], 0                                      // 00000000857C: BEBC0180
	v_readlane_b32 s82, v3, 6                                  // 000000008580: D2890052 00010D03
	s_and_b32 s82, s82, 0xffffff                               // 000000008588: 8652FF52 00FFFFFF
	s_cmp_lt_u32 s82, s66                                      // 000000008590: BF0A4252
	s_cselect_b32 s20, s36, s60                                // 000000008594: 85143C24
	v_readlane_b32 s82, v3, 7                                  // 000000008598: D2890052 00010F03
	s_and_b32 s82, s82, 0xffffff                               // 0000000085A0: 8652FF52 00FFFFFF
	s_cmp_lt_u32 s82, s66                                      // 0000000085A8: BF0A4252
	s_cselect_b32 s21, s36, s60                                // 0000000085AC: 85153C24
	s_mov_b64 exec, s[20:21]                                   // 0000000085B0: BEFE0114
	global_atomic_add_f32 v6, v129, s[8:9]                     // 0000000085B4: DD348000 00088106
	s_mov_b64 exec, s[36:37]                                   // 0000000085BC: BEFE0124
	v_mov_b32_e32 v6, v70                                      // 0000000085C0: 7E0C0346
	s_mov_b64 s[60:61], 0                                      // 0000000085C4: BEBC0180
	v_readlane_b32 s82, v3, 8                                  // 0000000085C8: D2890052 00011103
	s_and_b32 s82, s82, 0xffffff                               // 0000000085D0: 8652FF52 00FFFFFF
	s_cmp_lt_u32 s82, s66                                      // 0000000085D8: BF0A4252
	s_cselect_b32 s20, s36, s60                                // 0000000085DC: 85143C24
	v_readlane_b32 s82, v3, 9                                  // 0000000085E0: D2890052 00011303
	s_and_b32 s82, s82, 0xffffff                               // 0000000085E8: 8652FF52 00FFFFFF
	s_cmp_lt_u32 s82, s66                                      // 0000000085F0: BF0A4252
	s_cselect_b32 s21, s36, s60                                // 0000000085F4: 85153C24
	s_mov_b64 exec, s[20:21]                                   // 0000000085F8: BEFE0114
	global_atomic_add_f32 v6, v132, s[8:9]                     // 0000000085FC: DD348000 00088406
	s_mov_b64 exec, s[36:37]                                   // 000000008604: BEFE0124
	v_mov_b32_e32 v6, v71                                      // 000000008608: 7E0C0347
	s_mov_b64 s[60:61], 0                                      // 00000000860C: BEBC0180
	v_readlane_b32 s82, v3, 10                                 // 000000008610: D2890052 00011503
	s_and_b32 s82, s82, 0xffffff                               // 000000008618: 8652FF52 00FFFFFF
	s_cmp_lt_u32 s82, s66                                      // 000000008620: BF0A4252
	s_cselect_b32 s20, s36, s60                                // 000000008624: 85143C24
	v_readlane_b32 s82, v3, 11                                 // 000000008628: D2890052 00011703
	s_and_b32 s82, s82, 0xffffff                               // 000000008630: 8652FF52 00FFFFFF
	s_cmp_lt_u32 s82, s66                                      // 000000008638: BF0A4252
	s_cselect_b32 s21, s36, s60                                // 00000000863C: 85153C24
	s_mov_b64 exec, s[20:21]                                   // 000000008640: BEFE0114
	global_atomic_add_f32 v6, v133, s[8:9]                     // 000000008644: DD348000 00088506
	s_mov_b64 exec, s[36:37]                                   // 00000000864C: BEFE0124
	v_mov_b32_e32 v6, v72                                      // 000000008650: 7E0C0348
	s_mov_b64 s[60:61], 0                                      // 000000008654: BEBC0180
	v_readlane_b32 s82, v3, 12                                 // 000000008658: D2890052 00011903
	s_and_b32 s82, s82, 0xffffff                               // 000000008660: 8652FF52 00FFFFFF
	s_cmp_lt_u32 s82, s66                                      // 000000008668: BF0A4252
	s_cselect_b32 s20, s36, s60                                // 00000000866C: 85143C24
	v_readlane_b32 s82, v3, 13                                 // 000000008670: D2890052 00011B03
	s_and_b32 s82, s82, 0xffffff                               // 000000008678: 8652FF52 00FFFFFF
	s_cmp_lt_u32 s82, s66                                      // 000000008680: BF0A4252
	s_cselect_b32 s21, s36, s60                                // 000000008684: 85153C24
	s_mov_b64 exec, s[20:21]                                   // 000000008688: BEFE0114
	global_atomic_add_f32 v6, v136, s[8:9]                     // 00000000868C: DD348000 00088806
	s_mov_b64 exec, s[36:37]                                   // 000000008694: BEFE0124
	v_mov_b32_e32 v6, v73                                      // 000000008698: 7E0C0349
	s_mov_b64 s[60:61], 0                                      // 00000000869C: BEBC0180
	v_readlane_b32 s82, v3, 14                                 // 0000000086A0: D2890052 00011D03
	s_and_b32 s82, s82, 0xffffff                               // 0000000086A8: 8652FF52 00FFFFFF
	s_cmp_lt_u32 s82, s66                                      // 0000000086B0: BF0A4252
	s_cselect_b32 s20, s36, s60                                // 0000000086B4: 85143C24
	v_readlane_b32 s82, v3, 15                                 // 0000000086B8: D2890052 00011F03
	s_and_b32 s82, s82, 0xffffff                               // 0000000086C0: 8652FF52 00FFFFFF
	s_cmp_lt_u32 s82, s66                                      // 0000000086C8: BF0A4252
	s_cselect_b32 s21, s36, s60                                // 0000000086CC: 85153C24
	s_mov_b64 exec, s[20:21]                                   // 0000000086D0: BEFE0114
	global_atomic_add_f32 v6, v137, s[8:9]                     // 0000000086D4: DD348000 00088906
	s_mov_b64 exec, s[36:37]                                   // 0000000086DC: BEFE0124
	v_mov_b32_e32 v6, v74                                      // 0000000086E0: 7E0C034A
	s_mov_b64 s[60:61], 0                                      // 0000000086E4: BEBC0180
	v_readlane_b32 s82, v3, 16                                 // 0000000086E8: D2890052 00012103
	s_and_b32 s82, s82, 0xffffff                               // 0000000086F0: 8652FF52 00FFFFFF
	s_cmp_lt_u32 s82, s66                                      // 0000000086F8: BF0A4252
	s_cselect_b32 s20, s36, s60                                // 0000000086FC: 85143C24
	v_readlane_b32 s82, v3, 17                                 // 000000008700: D2890052 00012303
	s_and_b32 s82, s82, 0xffffff                               // 000000008708: 8652FF52 00FFFFFF
	s_cmp_lt_u32 s82, s66                                      // 000000008710: BF0A4252
	s_cselect_b32 s21, s36, s60                                // 000000008714: 85153C24
	s_mov_b64 exec, s[20:21]                                   // 000000008718: BEFE0114
	global_atomic_add_f32 v6, v140, s[8:9]                     // 00000000871C: DD348000 00088C06
	s_mov_b64 exec, s[36:37]                                   // 000000008724: BEFE0124
	v_mov_b32_e32 v6, v75                                      // 000000008728: 7E0C034B
	s_mov_b64 s[60:61], 0                                      // 00000000872C: BEBC0180
	v_readlane_b32 s82, v3, 18                                 // 000000008730: D2890052 00012503
	s_and_b32 s82, s82, 0xffffff                               // 000000008738: 8652FF52 00FFFFFF
	s_cmp_lt_u32 s82, s66                                      // 000000008740: BF0A4252
	s_cselect_b32 s20, s36, s60                                // 000000008744: 85143C24
	v_readlane_b32 s82, v3, 19                                 // 000000008748: D2890052 00012703
	s_and_b32 s82, s82, 0xffffff                               // 000000008750: 8652FF52 00FFFFFF
	s_cmp_lt_u32 s82, s66                                      // 000000008758: BF0A4252
	s_cselect_b32 s21, s36, s60                                // 00000000875C: 85153C24
	s_mov_b64 exec, s[20:21]                                   // 000000008760: BEFE0114
	global_atomic_add_f32 v6, v141, s[8:9]                     // 000000008764: DD348000 00088D06
	s_mov_b64 exec, s[36:37]                                   // 00000000876C: BEFE0124
	v_mov_b32_e32 v6, v76                                      // 000000008770: 7E0C034C
	s_mov_b64 s[60:61], 0                                      // 000000008774: BEBC0180
	v_readlane_b32 s82, v3, 20                                 // 000000008778: D2890052 00012903
	s_and_b32 s82, s82, 0xffffff                               // 000000008780: 8652FF52 00FFFFFF
	s_cmp_lt_u32 s82, s66                                      // 000000008788: BF0A4252
	s_cselect_b32 s20, s36, s60                                // 00000000878C: 85143C24
	v_readlane_b32 s82, v3, 21                                 // 000000008790: D2890052 00012B03
	s_and_b32 s82, s82, 0xffffff                               // 000000008798: 8652FF52 00FFFFFF
	s_cmp_lt_u32 s82, s66                                      // 0000000087A0: BF0A4252
	s_cselect_b32 s21, s36, s60                                // 0000000087A4: 85153C24
	s_mov_b64 exec, s[20:21]                                   // 0000000087A8: BEFE0114
	global_atomic_add_f32 v6, v144, s[8:9]                     // 0000000087AC: DD348000 00089006
	s_mov_b64 exec, s[36:37]                                   // 0000000087B4: BEFE0124
	v_mov_b32_e32 v6, v77                                      // 0000000087B8: 7E0C034D
	s_mov_b64 s[60:61], 0                                      // 0000000087BC: BEBC0180
	v_readlane_b32 s82, v3, 22                                 // 0000000087C0: D2890052 00012D03
	s_and_b32 s82, s82, 0xffffff                               // 0000000087C8: 8652FF52 00FFFFFF
	s_cmp_lt_u32 s82, s66                                      // 0000000087D0: BF0A4252
	s_cselect_b32 s20, s36, s60                                // 0000000087D4: 85143C24
	v_readlane_b32 s82, v3, 23                                 // 0000000087D8: D2890052 00012F03
	s_and_b32 s82, s82, 0xffffff                               // 0000000087E0: 8652FF52 00FFFFFF
	s_cmp_lt_u32 s82, s66                                      // 0000000087E8: BF0A4252
	s_cselect_b32 s21, s36, s60                                // 0000000087EC: 85153C24
	s_mov_b64 exec, s[20:21]                                   // 0000000087F0: BEFE0114
	global_atomic_add_f32 v6, v145, s[8:9]                     // 0000000087F4: DD348000 00089106
	s_mov_b64 exec, s[36:37]                                   // 0000000087FC: BEFE0124
	v_mov_b32_e32 v6, v78                                      // 000000008800: 7E0C034E
	s_mov_b64 s[60:61], 0                                      // 000000008804: BEBC0180
	v_readlane_b32 s82, v3, 24                                 // 000000008808: D2890052 00013103
	s_and_b32 s82, s82, 0xffffff                               // 000000008810: 8652FF52 00FFFFFF
	s_cmp_lt_u32 s82, s66                                      // 000000008818: BF0A4252
	s_cselect_b32 s20, s36, s60                                // 00000000881C: 85143C24
	v_readlane_b32 s82, v3, 25                                 // 000000008820: D2890052 00013303
	s_and_b32 s82, s82, 0xffffff                               // 000000008828: 8652FF52 00FFFFFF
	s_cmp_lt_u32 s82, s66                                      // 000000008830: BF0A4252
	s_cselect_b32 s21, s36, s60                                // 000000008834: 85153C24
	s_mov_b64 exec, s[20:21]                                   // 000000008838: BEFE0114
	global_atomic_add_f32 v6, v148, s[8:9]                     // 00000000883C: DD348000 00089406
	s_mov_b64 exec, s[36:37]                                   // 000000008844: BEFE0124
	v_mov_b32_e32 v6, v79                                      // 000000008848: 7E0C034F
	s_mov_b64 s[60:61], 0                                      // 00000000884C: BEBC0180
	v_readlane_b32 s82, v3, 26                                 // 000000008850: D2890052 00013503
	s_and_b32 s82, s82, 0xffffff                               // 000000008858: 8652FF52 00FFFFFF
	s_cmp_lt_u32 s82, s66                                      // 000000008860: BF0A4252
	s_cselect_b32 s20, s36, s60                                // 000000008864: 85143C24
	v_readlane_b32 s82, v3, 27                                 // 000000008868: D2890052 00013703
	s_and_b32 s82, s82, 0xffffff                               // 000000008870: 8652FF52 00FFFFFF
	s_cmp_lt_u32 s82, s66                                      // 000000008878: BF0A4252
	s_cselect_b32 s21, s36, s60                                // 00000000887C: 85153C24
	s_mov_b64 exec, s[20:21]                                   // 000000008880: BEFE0114
	global_atomic_add_f32 v6, v149, s[8:9]                     // 000000008884: DD348000 00089506
	s_mov_b64 exec, s[36:37]                                   // 00000000888C: BEFE0124
	v_mov_b32_e32 v6, v80                                      // 000000008890: 7E0C0350
	s_mov_b64 s[60:61], 0                                      // 000000008894: BEBC0180
	v_readlane_b32 s82, v3, 28                                 // 000000008898: D2890052 00013903
	s_and_b32 s82, s82, 0xffffff                               // 0000000088A0: 8652FF52 00FFFFFF
	s_cmp_lt_u32 s82, s66                                      // 0000000088A8: BF0A4252
	s_cselect_b32 s20, s36, s60                                // 0000000088AC: 85143C24
	v_readlane_b32 s82, v3, 29                                 // 0000000088B0: D2890052 00013B03
	s_and_b32 s82, s82, 0xffffff                               // 0000000088B8: 8652FF52 00FFFFFF
	s_cmp_lt_u32 s82, s66                                      // 0000000088C0: BF0A4252
	s_cselect_b32 s21, s36, s60                                // 0000000088C4: 85153C24
	s_mov_b64 exec, s[20:21]                                   // 0000000088C8: BEFE0114
	global_atomic_add_f32 v6, v152, s[8:9]                     // 0000000088CC: DD348000 00089806
	s_mov_b64 exec, s[36:37]                                   // 0000000088D4: BEFE0124
	v_mov_b32_e32 v6, v81                                      // 0000000088D8: 7E0C0351
	s_mov_b64 s[60:61], 0                                      // 0000000088DC: BEBC0180
	v_readlane_b32 s82, v3, 30                                 // 0000000088E0: D2890052 00013D03
	s_and_b32 s82, s82, 0xffffff                               // 0000000088E8: 8652FF52 00FFFFFF
	s_cmp_lt_u32 s82, s66                                      // 0000000088F0: BF0A4252
	s_cselect_b32 s20, s36, s60                                // 0000000088F4: 85143C24
	v_readlane_b32 s82, v3, 31                                 // 0000000088F8: D2890052 00013F03
	s_and_b32 s82, s82, 0xffffff                               // 000000008900: 8652FF52 00FFFFFF
	s_cmp_lt_u32 s82, s66                                      // 000000008908: BF0A4252
	s_cselect_b32 s21, s36, s60                                // 00000000890C: 85153C24
	s_mov_b64 exec, s[20:21]                                   // 000000008910: BEFE0114
	global_atomic_add_f32 v6, v153, s[8:9]                     // 000000008914: DD348000 00089906
	s_mov_b64 exec, s[36:37]                                   // 00000000891C: BEFE0124
	v_mov_b32_e32 v6, v82                                      // 000000008920: 7E0C0352
	s_mov_b64 s[60:61], 0                                      // 000000008924: BEBC0180
	v_readlane_b32 s82, v3, 32                                 // 000000008928: D2890052 00014103
	s_and_b32 s82, s82, 0xffffff                               // 000000008930: 8652FF52 00FFFFFF
	s_cmp_lt_u32 s82, s66                                      // 000000008938: BF0A4252
	s_cselect_b32 s20, s36, s60                                // 00000000893C: 85143C24
	v_readlane_b32 s82, v3, 33                                 // 000000008940: D2890052 00014303
	s_and_b32 s82, s82, 0xffffff                               // 000000008948: 8652FF52 00FFFFFF
	s_cmp_lt_u32 s82, s66                                      // 000000008950: BF0A4252
	s_cselect_b32 s21, s36, s60                                // 000000008954: 85153C24
	s_mov_b64 exec, s[20:21]                                   // 000000008958: BEFE0114
	global_atomic_add_f32 v6, v156, s[8:9]                     // 00000000895C: DD348000 00089C06
	s_mov_b64 exec, s[36:37]                                   // 000000008964: BEFE0124
	v_mov_b32_e32 v6, v83                                      // 000000008968: 7E0C0353
	s_mov_b64 s[60:61], 0                                      // 00000000896C: BEBC0180
	v_readlane_b32 s82, v3, 34                                 // 000000008970: D2890052 00014503
	s_and_b32 s82, s82, 0xffffff                               // 000000008978: 8652FF52 00FFFFFF
	s_cmp_lt_u32 s82, s66                                      // 000000008980: BF0A4252
	s_cselect_b32 s20, s36, s60                                // 000000008984: 85143C24
	v_readlane_b32 s82, v3, 35                                 // 000000008988: D2890052 00014703
	s_and_b32 s82, s82, 0xffffff                               // 000000008990: 8652FF52 00FFFFFF
	s_cmp_lt_u32 s82, s66                                      // 000000008998: BF0A4252
	s_cselect_b32 s21, s36, s60                                // 00000000899C: 85153C24
	s_mov_b64 exec, s[20:21]                                   // 0000000089A0: BEFE0114
	global_atomic_add_f32 v6, v157, s[8:9]                     // 0000000089A4: DD348000 00089D06
	s_mov_b64 exec, s[36:37]                                   // 0000000089AC: BEFE0124
	ds_write_b64 v20, v[126:127]                               // 0000000089B0: D89A0000 00007E14
	ds_write_b64 v20, v[130:131] offset:2176                   // 0000000089B8: D89A0880 00008214
	ds_write_b64 v20, v[134:135] offset:4352                   // 0000000089C0: D89A1100 00008614
	ds_write_b64 v20, v[138:139] offset:6528                   // 0000000089C8: D89A1980 00008A14
	ds_write_b64 v20, v[142:143] offset:8704                   // 0000000089D0: D89A2200 00008E14
	ds_write_b64 v20, v[146:147] offset:10880                  // 0000000089D8: D89A2A80 00009214
	ds_write_b64 v20, v[150:151] offset:13056                  // 0000000089E0: D89A3300 00009614
	ds_write_b64 v20, v[154:155] offset:15232                  // 0000000089E8: D89A3B80 00009A14
	ds_write_b64 v20, v[158:159] offset:17408                  // 0000000089F0: D89A4400 00009E14
	s_waitcnt lgkmcnt(0)                                       // 0000000089F8: BF8CC07F
	s_barrier                                                  // 0000000089FC: BF8A0000
	ds_read_b32 v126, v21                                      // 000000008A00: D86C0000 7E000015
	ds_read_b32 v127, v21 offset:64                            // 000000008A08: D86C0040 7F000015
	ds_read_b32 v130, v21 offset:2176                          // 000000008A10: D86C0880 82000015
	ds_read_b32 v131, v21 offset:2240                          // 000000008A18: D86C08C0 83000015
	ds_read_b32 v134, v21 offset:4352                          // 000000008A20: D86C1100 86000015
	ds_read_b32 v135, v21 offset:4416                          // 000000008A28: D86C1140 87000015
	ds_read_b32 v138, v21 offset:6528                          // 000000008A30: D86C1980 8A000015
	ds_read_b32 v139, v21 offset:6592                          // 000000008A38: D86C19C0 8B000015
	ds_read_b32 v142, v21 offset:8704                          // 000000008A40: D86C2200 8E000015
	ds_read_b32 v143, v21 offset:8768                          // 000000008A48: D86C2240 8F000015
	ds_read_b32 v146, v21 offset:10880                         // 000000008A50: D86C2A80 92000015
	ds_read_b32 v147, v21 offset:10944                         // 000000008A58: D86C2AC0 93000015
	ds_read_b32 v150, v21 offset:13056                         // 000000008A60: D86C3300 96000015
	ds_read_b32 v151, v21 offset:13120                         // 000000008A68: D86C3340 97000015
	ds_read_b32 v154, v21 offset:15232                         // 000000008A70: D86C3B80 9A000015
	ds_read_b32 v155, v21 offset:15296                         // 000000008A78: D86C3BC0 9B000015
	ds_read_b32 v158, v21 offset:17408                         // 000000008A80: D86C4400 9E000015
	ds_read_b32 v159, v21 offset:17472                         // 000000008A88: D86C4440 9F000015
	s_waitcnt lgkmcnt(0)                                       // 000000008A90: BF8CC07F
	v_mov_b32_e32 v7, 0                                        // 000000008A94: 7E0E0280
	s_mov_b64 exec, s[36:37]                                   // 000000008A98: BEFE0124
	v_mov_b32_e32 v6, v66                                      // 000000008A9C: 7E0C0342
	s_mov_b64 s[60:61], 0                                      // 000000008AA0: BEBC0180
	v_readlane_b32 s82, v3, 0                                  // 000000008AA4: D2890052 00010103
	s_and_b32 s82, s82, 0xffffff                               // 000000008AAC: 8652FF52 00FFFFFF
	s_cmp_lt_u32 s82, s66                                      // 000000008AB4: BF0A4252
	s_cselect_b32 s20, s36, s60                                // 000000008AB8: 85143C24
	v_readlane_b32 s82, v3, 1                                  // 000000008ABC: D2890052 00010303
	s_and_b32 s82, s82, 0xffffff                               // 000000008AC4: 8652FF52 00FFFFFF
	s_cmp_lt_u32 s82, s66                                      // 000000008ACC: BF0A4252
	s_cselect_b32 s21, s36, s60                                // 000000008AD0: 85153C24
	s_mov_b64 exec, s[20:21]                                   // 000000008AD4: BEFE0114
	global_atomic_add_f32 v6, v126, s[8:9] offset:8            // 000000008AD8: DD348008 00087E06
	s_mov_b64 exec, s[36:37]                                   // 000000008AE0: BEFE0124
	v_mov_b32_e32 v6, v67                                      // 000000008AE4: 7E0C0343
	s_mov_b64 s[60:61], 0                                      // 000000008AE8: BEBC0180
	v_readlane_b32 s82, v3, 2                                  // 000000008AEC: D2890052 00010503
	s_and_b32 s82, s82, 0xffffff                               // 000000008AF4: 8652FF52 00FFFFFF
	s_cmp_lt_u32 s82, s66                                      // 000000008AFC: BF0A4252
	s_cselect_b32 s20, s36, s60                                // 000000008B00: 85143C24
	v_readlane_b32 s82, v3, 3                                  // 000000008B04: D2890052 00010703
	s_and_b32 s82, s82, 0xffffff                               // 000000008B0C: 8652FF52 00FFFFFF
	s_cmp_lt_u32 s82, s66                                      // 000000008B14: BF0A4252
	s_cselect_b32 s21, s36, s60                                // 000000008B18: 85153C24
	s_mov_b64 exec, s[20:21]                                   // 000000008B1C: BEFE0114
	global_atomic_add_f32 v6, v127, s[8:9] offset:8            // 000000008B20: DD348008 00087F06
	s_mov_b64 exec, s[36:37]                                   // 000000008B28: BEFE0124
	v_mov_b32_e32 v6, v68                                      // 000000008B2C: 7E0C0344
	s_mov_b64 s[60:61], 0                                      // 000000008B30: BEBC0180
	v_readlane_b32 s82, v3, 4                                  // 000000008B34: D2890052 00010903
	s_and_b32 s82, s82, 0xffffff                               // 000000008B3C: 8652FF52 00FFFFFF
	s_cmp_lt_u32 s82, s66                                      // 000000008B44: BF0A4252
	s_cselect_b32 s20, s36, s60                                // 000000008B48: 85143C24
	v_readlane_b32 s82, v3, 5                                  // 000000008B4C: D2890052 00010B03
	s_and_b32 s82, s82, 0xffffff                               // 000000008B54: 8652FF52 00FFFFFF
	s_cmp_lt_u32 s82, s66                                      // 000000008B5C: BF0A4252
	s_cselect_b32 s21, s36, s60                                // 000000008B60: 85153C24
	s_mov_b64 exec, s[20:21]                                   // 000000008B64: BEFE0114
	global_atomic_add_f32 v6, v130, s[8:9] offset:8            // 000000008B68: DD348008 00088206
	s_mov_b64 exec, s[36:37]                                   // 000000008B70: BEFE0124
	v_mov_b32_e32 v6, v69                                      // 000000008B74: 7E0C0345
	s_mov_b64 s[60:61], 0                                      // 000000008B78: BEBC0180
	v_readlane_b32 s82, v3, 6                                  // 000000008B7C: D2890052 00010D03
	s_and_b32 s82, s82, 0xffffff                               // 000000008B84: 8652FF52 00FFFFFF
	s_cmp_lt_u32 s82, s66                                      // 000000008B8C: BF0A4252
	s_cselect_b32 s20, s36, s60                                // 000000008B90: 85143C24
	v_readlane_b32 s82, v3, 7                                  // 000000008B94: D2890052 00010F03
	s_and_b32 s82, s82, 0xffffff                               // 000000008B9C: 8652FF52 00FFFFFF
	s_cmp_lt_u32 s82, s66                                      // 000000008BA4: BF0A4252
	s_cselect_b32 s21, s36, s60                                // 000000008BA8: 85153C24
	s_mov_b64 exec, s[20:21]                                   // 000000008BAC: BEFE0114
	global_atomic_add_f32 v6, v131, s[8:9] offset:8            // 000000008BB0: DD348008 00088306
	s_mov_b64 exec, s[36:37]                                   // 000000008BB8: BEFE0124
	v_mov_b32_e32 v6, v70                                      // 000000008BBC: 7E0C0346
	s_mov_b64 s[60:61], 0                                      // 000000008BC0: BEBC0180
	v_readlane_b32 s82, v3, 8                                  // 000000008BC4: D2890052 00011103
	s_and_b32 s82, s82, 0xffffff                               // 000000008BCC: 8652FF52 00FFFFFF
	s_cmp_lt_u32 s82, s66                                      // 000000008BD4: BF0A4252
	s_cselect_b32 s20, s36, s60                                // 000000008BD8: 85143C24
	v_readlane_b32 s82, v3, 9                                  // 000000008BDC: D2890052 00011303
	s_and_b32 s82, s82, 0xffffff                               // 000000008BE4: 8652FF52 00FFFFFF
	s_cmp_lt_u32 s82, s66                                      // 000000008BEC: BF0A4252
	s_cselect_b32 s21, s36, s60                                // 000000008BF0: 85153C24
	s_mov_b64 exec, s[20:21]                                   // 000000008BF4: BEFE0114
	global_atomic_add_f32 v6, v134, s[8:9] offset:8            // 000000008BF8: DD348008 00088606
	s_mov_b64 exec, s[36:37]                                   // 000000008C00: BEFE0124
	v_mov_b32_e32 v6, v71                                      // 000000008C04: 7E0C0347
	s_mov_b64 s[60:61], 0                                      // 000000008C08: BEBC0180
	v_readlane_b32 s82, v3, 10                                 // 000000008C0C: D2890052 00011503
	s_and_b32 s82, s82, 0xffffff                               // 000000008C14: 8652FF52 00FFFFFF
	s_cmp_lt_u32 s82, s66                                      // 000000008C1C: BF0A4252
	s_cselect_b32 s20, s36, s60                                // 000000008C20: 85143C24
	v_readlane_b32 s82, v3, 11                                 // 000000008C24: D2890052 00011703
	s_and_b32 s82, s82, 0xffffff                               // 000000008C2C: 8652FF52 00FFFFFF
	s_cmp_lt_u32 s82, s66                                      // 000000008C34: BF0A4252
	s_cselect_b32 s21, s36, s60                                // 000000008C38: 85153C24
	s_mov_b64 exec, s[20:21]                                   // 000000008C3C: BEFE0114
	global_atomic_add_f32 v6, v135, s[8:9] offset:8            // 000000008C40: DD348008 00088706
	s_mov_b64 exec, s[36:37]                                   // 000000008C48: BEFE0124
	v_mov_b32_e32 v6, v72                                      // 000000008C4C: 7E0C0348
	s_mov_b64 s[60:61], 0                                      // 000000008C50: BEBC0180
	v_readlane_b32 s82, v3, 12                                 // 000000008C54: D2890052 00011903
	s_and_b32 s82, s82, 0xffffff                               // 000000008C5C: 8652FF52 00FFFFFF
	s_cmp_lt_u32 s82, s66                                      // 000000008C64: BF0A4252
	s_cselect_b32 s20, s36, s60                                // 000000008C68: 85143C24
	v_readlane_b32 s82, v3, 13                                 // 000000008C6C: D2890052 00011B03
	s_and_b32 s82, s82, 0xffffff                               // 000000008C74: 8652FF52 00FFFFFF
	s_cmp_lt_u32 s82, s66                                      // 000000008C7C: BF0A4252
	s_cselect_b32 s21, s36, s60                                // 000000008C80: 85153C24
	s_mov_b64 exec, s[20:21]                                   // 000000008C84: BEFE0114
	global_atomic_add_f32 v6, v138, s[8:9] offset:8            // 000000008C88: DD348008 00088A06
	s_mov_b64 exec, s[36:37]                                   // 000000008C90: BEFE0124
	v_mov_b32_e32 v6, v73                                      // 000000008C94: 7E0C0349
	s_mov_b64 s[60:61], 0                                      // 000000008C98: BEBC0180
	v_readlane_b32 s82, v3, 14                                 // 000000008C9C: D2890052 00011D03
	s_and_b32 s82, s82, 0xffffff                               // 000000008CA4: 8652FF52 00FFFFFF
	s_cmp_lt_u32 s82, s66                                      // 000000008CAC: BF0A4252
	s_cselect_b32 s20, s36, s60                                // 000000008CB0: 85143C24
	v_readlane_b32 s82, v3, 15                                 // 000000008CB4: D2890052 00011F03
	s_and_b32 s82, s82, 0xffffff                               // 000000008CBC: 8652FF52 00FFFFFF
	s_cmp_lt_u32 s82, s66                                      // 000000008CC4: BF0A4252
	s_cselect_b32 s21, s36, s60                                // 000000008CC8: 85153C24
	s_mov_b64 exec, s[20:21]                                   // 000000008CCC: BEFE0114
	global_atomic_add_f32 v6, v139, s[8:9] offset:8            // 000000008CD0: DD348008 00088B06
	s_mov_b64 exec, s[36:37]                                   // 000000008CD8: BEFE0124
	v_mov_b32_e32 v6, v74                                      // 000000008CDC: 7E0C034A
	s_mov_b64 s[60:61], 0                                      // 000000008CE0: BEBC0180
	v_readlane_b32 s82, v3, 16                                 // 000000008CE4: D2890052 00012103
	s_and_b32 s82, s82, 0xffffff                               // 000000008CEC: 8652FF52 00FFFFFF
	s_cmp_lt_u32 s82, s66                                      // 000000008CF4: BF0A4252
	s_cselect_b32 s20, s36, s60                                // 000000008CF8: 85143C24
	v_readlane_b32 s82, v3, 17                                 // 000000008CFC: D2890052 00012303
	s_and_b32 s82, s82, 0xffffff                               // 000000008D04: 8652FF52 00FFFFFF
	s_cmp_lt_u32 s82, s66                                      // 000000008D0C: BF0A4252
	s_cselect_b32 s21, s36, s60                                // 000000008D10: 85153C24
	s_mov_b64 exec, s[20:21]                                   // 000000008D14: BEFE0114
	global_atomic_add_f32 v6, v142, s[8:9] offset:8            // 000000008D18: DD348008 00088E06
	s_mov_b64 exec, s[36:37]                                   // 000000008D20: BEFE0124
	v_mov_b32_e32 v6, v75                                      // 000000008D24: 7E0C034B
	s_mov_b64 s[60:61], 0                                      // 000000008D28: BEBC0180
	v_readlane_b32 s82, v3, 18                                 // 000000008D2C: D2890052 00012503
	s_and_b32 s82, s82, 0xffffff                               // 000000008D34: 8652FF52 00FFFFFF
	s_cmp_lt_u32 s82, s66                                      // 000000008D3C: BF0A4252
	s_cselect_b32 s20, s36, s60                                // 000000008D40: 85143C24
	v_readlane_b32 s82, v3, 19                                 // 000000008D44: D2890052 00012703
	s_and_b32 s82, s82, 0xffffff                               // 000000008D4C: 8652FF52 00FFFFFF
	s_cmp_lt_u32 s82, s66                                      // 000000008D54: BF0A4252
	s_cselect_b32 s21, s36, s60                                // 000000008D58: 85153C24
	s_mov_b64 exec, s[20:21]                                   // 000000008D5C: BEFE0114
	global_atomic_add_f32 v6, v143, s[8:9] offset:8            // 000000008D60: DD348008 00088F06
	s_mov_b64 exec, s[36:37]                                   // 000000008D68: BEFE0124
	v_mov_b32_e32 v6, v76                                      // 000000008D6C: 7E0C034C
	s_mov_b64 s[60:61], 0                                      // 000000008D70: BEBC0180
	v_readlane_b32 s82, v3, 20                                 // 000000008D74: D2890052 00012903
	s_and_b32 s82, s82, 0xffffff                               // 000000008D7C: 8652FF52 00FFFFFF
	s_cmp_lt_u32 s82, s66                                      // 000000008D84: BF0A4252
	s_cselect_b32 s20, s36, s60                                // 000000008D88: 85143C24
	v_readlane_b32 s82, v3, 21                                 // 000000008D8C: D2890052 00012B03
	s_and_b32 s82, s82, 0xffffff                               // 000000008D94: 8652FF52 00FFFFFF
	s_cmp_lt_u32 s82, s66                                      // 000000008D9C: BF0A4252
	s_cselect_b32 s21, s36, s60                                // 000000008DA0: 85153C24
	s_mov_b64 exec, s[20:21]                                   // 000000008DA4: BEFE0114
	global_atomic_add_f32 v6, v146, s[8:9] offset:8            // 000000008DA8: DD348008 00089206
	s_mov_b64 exec, s[36:37]                                   // 000000008DB0: BEFE0124
	v_mov_b32_e32 v6, v77                                      // 000000008DB4: 7E0C034D
	s_mov_b64 s[60:61], 0                                      // 000000008DB8: BEBC0180
	v_readlane_b32 s82, v3, 22                                 // 000000008DBC: D2890052 00012D03
	s_and_b32 s82, s82, 0xffffff                               // 000000008DC4: 8652FF52 00FFFFFF
	s_cmp_lt_u32 s82, s66                                      // 000000008DCC: BF0A4252
	s_cselect_b32 s20, s36, s60                                // 000000008DD0: 85143C24
	v_readlane_b32 s82, v3, 23                                 // 000000008DD4: D2890052 00012F03
	s_and_b32 s82, s82, 0xffffff                               // 000000008DDC: 8652FF52 00FFFFFF
	s_cmp_lt_u32 s82, s66                                      // 000000008DE4: BF0A4252
	s_cselect_b32 s21, s36, s60                                // 000000008DE8: 85153C24
	s_mov_b64 exec, s[20:21]                                   // 000000008DEC: BEFE0114
	global_atomic_add_f32 v6, v147, s[8:9] offset:8            // 000000008DF0: DD348008 00089306
	s_mov_b64 exec, s[36:37]                                   // 000000008DF8: BEFE0124
	v_mov_b32_e32 v6, v78                                      // 000000008DFC: 7E0C034E
	s_mov_b64 s[60:61], 0                                      // 000000008E00: BEBC0180
	v_readlane_b32 s82, v3, 24                                 // 000000008E04: D2890052 00013103
	s_and_b32 s82, s82, 0xffffff                               // 000000008E0C: 8652FF52 00FFFFFF
	s_cmp_lt_u32 s82, s66                                      // 000000008E14: BF0A4252
	s_cselect_b32 s20, s36, s60                                // 000000008E18: 85143C24
	v_readlane_b32 s82, v3, 25                                 // 000000008E1C: D2890052 00013303
	s_and_b32 s82, s82, 0xffffff                               // 000000008E24: 8652FF52 00FFFFFF
	s_cmp_lt_u32 s82, s66                                      // 000000008E2C: BF0A4252
	s_cselect_b32 s21, s36, s60                                // 000000008E30: 85153C24
	s_mov_b64 exec, s[20:21]                                   // 000000008E34: BEFE0114
	global_atomic_add_f32 v6, v150, s[8:9] offset:8            // 000000008E38: DD348008 00089606
	s_mov_b64 exec, s[36:37]                                   // 000000008E40: BEFE0124
	v_mov_b32_e32 v6, v79                                      // 000000008E44: 7E0C034F
	s_mov_b64 s[60:61], 0                                      // 000000008E48: BEBC0180
	v_readlane_b32 s82, v3, 26                                 // 000000008E4C: D2890052 00013503
	s_and_b32 s82, s82, 0xffffff                               // 000000008E54: 8652FF52 00FFFFFF
	s_cmp_lt_u32 s82, s66                                      // 000000008E5C: BF0A4252
	s_cselect_b32 s20, s36, s60                                // 000000008E60: 85143C24
	v_readlane_b32 s82, v3, 27                                 // 000000008E64: D2890052 00013703
	s_and_b32 s82, s82, 0xffffff                               // 000000008E6C: 8652FF52 00FFFFFF
	s_cmp_lt_u32 s82, s66                                      // 000000008E74: BF0A4252
	s_cselect_b32 s21, s36, s60                                // 000000008E78: 85153C24
	s_mov_b64 exec, s[20:21]                                   // 000000008E7C: BEFE0114
	global_atomic_add_f32 v6, v151, s[8:9] offset:8            // 000000008E80: DD348008 00089706
	s_mov_b64 exec, s[36:37]                                   // 000000008E88: BEFE0124
	v_mov_b32_e32 v6, v80                                      // 000000008E8C: 7E0C0350
	s_mov_b64 s[60:61], 0                                      // 000000008E90: BEBC0180
	v_readlane_b32 s82, v3, 28                                 // 000000008E94: D2890052 00013903
	s_and_b32 s82, s82, 0xffffff                               // 000000008E9C: 8652FF52 00FFFFFF
	s_cmp_lt_u32 s82, s66                                      // 000000008EA4: BF0A4252
	s_cselect_b32 s20, s36, s60                                // 000000008EA8: 85143C24
	v_readlane_b32 s82, v3, 29                                 // 000000008EAC: D2890052 00013B03
	s_and_b32 s82, s82, 0xffffff                               // 000000008EB4: 8652FF52 00FFFFFF
	s_cmp_lt_u32 s82, s66                                      // 000000008EBC: BF0A4252
	s_cselect_b32 s21, s36, s60                                // 000000008EC0: 85153C24
	s_mov_b64 exec, s[20:21]                                   // 000000008EC4: BEFE0114
	global_atomic_add_f32 v6, v154, s[8:9] offset:8            // 000000008EC8: DD348008 00089A06
	s_mov_b64 exec, s[36:37]                                   // 000000008ED0: BEFE0124
	v_mov_b32_e32 v6, v81                                      // 000000008ED4: 7E0C0351
	s_mov_b64 s[60:61], 0                                      // 000000008ED8: BEBC0180
	v_readlane_b32 s82, v3, 30                                 // 000000008EDC: D2890052 00013D03
	s_and_b32 s82, s82, 0xffffff                               // 000000008EE4: 8652FF52 00FFFFFF
	s_cmp_lt_u32 s82, s66                                      // 000000008EEC: BF0A4252
	s_cselect_b32 s20, s36, s60                                // 000000008EF0: 85143C24
	v_readlane_b32 s82, v3, 31                                 // 000000008EF4: D2890052 00013F03
	s_and_b32 s82, s82, 0xffffff                               // 000000008EFC: 8652FF52 00FFFFFF
	s_cmp_lt_u32 s82, s66                                      // 000000008F04: BF0A4252
	s_cselect_b32 s21, s36, s60                                // 000000008F08: 85153C24
	s_mov_b64 exec, s[20:21]                                   // 000000008F0C: BEFE0114
	global_atomic_add_f32 v6, v155, s[8:9] offset:8            // 000000008F10: DD348008 00089B06
	s_mov_b64 exec, s[36:37]                                   // 000000008F18: BEFE0124
	v_mov_b32_e32 v6, v82                                      // 000000008F1C: 7E0C0352
	s_mov_b64 s[60:61], 0                                      // 000000008F20: BEBC0180
	v_readlane_b32 s82, v3, 32                                 // 000000008F24: D2890052 00014103
	s_and_b32 s82, s82, 0xffffff                               // 000000008F2C: 8652FF52 00FFFFFF
	s_cmp_lt_u32 s82, s66                                      // 000000008F34: BF0A4252
	s_cselect_b32 s20, s36, s60                                // 000000008F38: 85143C24
	v_readlane_b32 s82, v3, 33                                 // 000000008F3C: D2890052 00014303
	s_and_b32 s82, s82, 0xffffff                               // 000000008F44: 8652FF52 00FFFFFF
	s_cmp_lt_u32 s82, s66                                      // 000000008F4C: BF0A4252
	s_cselect_b32 s21, s36, s60                                // 000000008F50: 85153C24
	s_mov_b64 exec, s[20:21]                                   // 000000008F54: BEFE0114
	global_atomic_add_f32 v6, v158, s[8:9] offset:8            // 000000008F58: DD348008 00089E06
	s_mov_b64 exec, s[36:37]                                   // 000000008F60: BEFE0124
	v_mov_b32_e32 v6, v83                                      // 000000008F64: 7E0C0353
	s_mov_b64 s[60:61], 0                                      // 000000008F68: BEBC0180
	v_readlane_b32 s82, v3, 34                                 // 000000008F6C: D2890052 00014503
	s_and_b32 s82, s82, 0xffffff                               // 000000008F74: 8652FF52 00FFFFFF
	s_cmp_lt_u32 s82, s66                                      // 000000008F7C: BF0A4252
	s_cselect_b32 s20, s36, s60                                // 000000008F80: 85143C24
	v_readlane_b32 s82, v3, 35                                 // 000000008F84: D2890052 00014703
	s_and_b32 s82, s82, 0xffffff                               // 000000008F8C: 8652FF52 00FFFFFF
	s_cmp_lt_u32 s82, s66                                      // 000000008F94: BF0A4252
	s_cselect_b32 s21, s36, s60                                // 000000008F98: 85153C24
	s_mov_b64 exec, s[20:21]                                   // 000000008F9C: BEFE0114
	global_atomic_add_f32 v6, v159, s[8:9] offset:8            // 000000008FA0: DD348008 00089F06
	s_mov_b64 exec, s[36:37]                                   // 000000008FA8: BEFE0124
	s_branch label_2F47                                        // 000000008FAC: BF8215D8

0000000000008fb0 <label_196F>:
	s_waitcnt vmcnt(20) lgkmcnt(0)                             // 000000008FB0: BF8C4074
	v_mfma_f32_16x16x32_fp8_fp8 v[88:91], a[144:145], a[0:1], v[88:91]// 000000008FB4: D3F30058 1D620190
	buffer_load_dwordx4 a[160:163], v84, s[24:27], 0 offen     // 000000008FBC: E05C1000 8086A054
	v_mfma_f32_16x16x32_fp8_fp8 v[88:91], a[146:147], a[2:3], v[88:91]// 000000008FC4: D3F30058 1D620592
	v_mfma_f32_16x16x32_fp8_fp8 v[88:91], a[148:149], a[4:5], v[88:91]// 000000008FCC: D3F30058 1D620994
	v_mfma_f32_16x16x32_fp8_fp8 v[88:91], a[150:151], a[6:7], v[88:91]// 000000008FD4: D3F30058 1D620D96
	v_mfma_f32_16x16x32_fp8_fp8 v[92:95], a[144:145], a[8:9], v[92:95]// 000000008FDC: D3F3005C 1D721190
	buffer_load_dwordx4 a[164:167], v84, s[24:27], 0 offen offset:1024// 000000008FE4: E05C1400 8086A454
	buffer_load_dword v66, s[20:23], 0 offen lds               // 000000008FEC: E0511000 80050042
	s_add_u32 m0, 0x100, s50                                   // 000000008FF4: 807C32FF 00000100
	v_mfma_f32_16x16x32_fp8_fp8 v[92:95], a[146:147], a[10:11], v[92:95]// 000000008FFC: D3F3005C 1D721592
	v_mfma_f32_16x16x32_fp8_fp8 v[92:95], a[148:149], a[12:13], v[92:95]// 000000009004: D3F3005C 1D721994
	buffer_load_dword v67, s[20:23], 0 offen lds               // 00000000900C: E0511000 80050043
	s_add_u32 m0, 0x200, s50                                   // 000000009014: 807C32FF 00000200
	v_mfma_f32_16x16x32_fp8_fp8 v[92:95], a[150:151], a[14:15], v[92:95]// 00000000901C: D3F3005C 1D721D96
	v_mfma_f32_16x16x32_fp8_fp8 v[96:99], a[144:145], a[16:17], v[96:99]// 000000009024: D3F30060 1D822190
	buffer_load_dword v68, s[20:23], 0 offen lds               // 00000000902C: E0511000 80050044
	s_add_u32 m0, 0x300, s50                                   // 000000009034: 807C32FF 00000300
	v_mfma_f32_16x16x32_fp8_fp8 v[96:99], a[146:147], a[18:19], v[96:99]// 00000000903C: D3F30060 1D822592
	v_mfma_f32_16x16x32_fp8_fp8 v[96:99], a[148:149], a[20:21], v[96:99]// 000000009044: D3F30060 1D822994
	buffer_load_dword v69, s[20:23], 0 offen lds               // 00000000904C: E0511000 80050045
	s_add_u32 m0, 0x400, s50                                   // 000000009054: 807C32FF 00000400
	v_mfma_f32_16x16x32_fp8_fp8 v[96:99], a[150:151], a[22:23], v[96:99]// 00000000905C: D3F30060 1D822D96
	v_mfma_f32_16x16x32_fp8_fp8 v[100:103], a[144:145], a[24:25], v[100:103]// 000000009064: D3F30064 1D923190
	buffer_load_dword v70, s[20:23], 0 offen lds               // 00000000906C: E0511000 80050046
	s_add_u32 m0, 0x500, s50                                   // 000000009074: 807C32FF 00000500
	v_mfma_f32_16x16x32_fp8_fp8 v[100:103], a[146:147], a[26:27], v[100:103]// 00000000907C: D3F30064 1D923592
	v_mfma_f32_16x16x32_fp8_fp8 v[100:103], a[148:149], a[28:29], v[100:103]// 000000009084: D3F30064 1D923994
	buffer_load_dword v71, s[20:23], 0 offen lds               // 00000000908C: E0511000 80050047
	s_add_u32 m0, 0x600, s50                                   // 000000009094: 807C32FF 00000600
	v_mfma_f32_16x16x32_fp8_fp8 v[100:103], a[150:151], a[30:31], v[100:103]// 00000000909C: D3F30064 1D923D96
	v_mfma_f32_16x16x32_fp8_fp8 v[104:107], a[144:145], a[32:33], v[104:107]// 0000000090A4: D3F30068 1DA24190
	buffer_load_dword v72, s[20:23], 0 offen lds               // 0000000090AC: E0511000 80050048
	s_add_u32 m0, 0x700, s50                                   // 0000000090B4: 807C32FF 00000700
	v_mfma_f32_16x16x32_fp8_fp8 v[104:107], a[146:147], a[34:35], v[104:107]// 0000000090BC: D3F30068 1DA24592
	v_mfma_f32_16x16x32_fp8_fp8 v[104:107], a[148:149], a[36:37], v[104:107]// 0000000090C4: D3F30068 1DA24994
	buffer_load_dword v73, s[20:23], 0 offen lds               // 0000000090CC: E0511000 80050049
	s_add_u32 m0, 0x800, s50                                   // 0000000090D4: 807C32FF 00000800
	v_mfma_f32_16x16x32_fp8_fp8 v[104:107], a[150:151], a[38:39], v[104:107]// 0000000090DC: D3F30068 1DA24D96
	v_mfma_f32_16x16x32_fp8_fp8 v[108:111], a[144:145], a[40:41], v[108:111]// 0000000090E4: D3F3006C 1DB25190
	buffer_load_dword v74, s[20:23], 0 offen lds               // 0000000090EC: E0511000 8005004A
	s_add_u32 m0, 0x900, s50                                   // 0000000090F4: 807C32FF 00000900
	v_mfma_f32_16x16x32_fp8_fp8 v[108:111], a[146:147], a[42:43], v[108:111]// 0000000090FC: D3F3006C 1DB25592
	v_mfma_f32_16x16x32_fp8_fp8 v[108:111], a[148:149], a[44:45], v[108:111]// 000000009104: D3F3006C 1DB25994
	buffer_load_dword v75, s[20:23], 0 offen lds               // 00000000910C: E0511000 8005004B
	s_add_u32 m0, 0xa00, s50                                   // 000000009114: 807C32FF 00000A00
	v_mfma_f32_16x16x32_fp8_fp8 v[108:111], a[150:151], a[46:47], v[108:111]// 00000000911C: D3F3006C 1DB25D96
	v_mfma_f32_16x16x32_fp8_fp8 v[112:115], a[144:145], a[48:49], v[112:115]// 000000009124: D3F30070 1DC26190
	buffer_load_dword v76, s[20:23], 0 offen lds               // 00000000912C: E0511000 8005004C
	s_add_u32 m0, 0xb00, s50                                   // 000000009134: 807C32FF 00000B00
	v_mfma_f32_16x16x32_fp8_fp8 v[112:115], a[146:147], a[50:51], v[112:115]// 00000000913C: D3F30070 1DC26592
	v_mfma_f32_16x16x32_fp8_fp8 v[112:115], a[148:149], a[52:53], v[112:115]// 000000009144: D3F30070 1DC26994
	buffer_load_dword v77, s[20:23], 0 offen lds               // 00000000914C: E0511000 8005004D
	s_add_u32 m0, 0xc00, s50                                   // 000000009154: 807C32FF 00000C00
	v_mfma_f32_16x16x32_fp8_fp8 v[112:115], a[150:151], a[54:55], v[112:115]// 00000000915C: D3F30070 1DC26D96
	v_mfma_f32_16x16x32_fp8_fp8 v[116:119], a[144:145], a[56:57], v[116:119]// 000000009164: D3F30074 1DD27190
	buffer_load_dword v78, s[20:23], 0 offen lds               // 00000000916C: E0511000 8005004E
	s_add_u32 m0, 0xd00, s50                                   // 000000009174: 807C32FF 00000D00
	v_mfma_f32_16x16x32_fp8_fp8 v[116:119], a[146:147], a[58:59], v[116:119]// 00000000917C: D3F30074 1DD27592
	v_mfma_f32_16x16x32_fp8_fp8 v[116:119], a[148:149], a[60:61], v[116:119]// 000000009184: D3F30074 1DD27994
	buffer_load_dword v79, s[20:23], 0 offen lds               // 00000000918C: E0511000 8005004F
	s_add_u32 m0, 0xe00, s50                                   // 000000009194: 807C32FF 00000E00
	v_mfma_f32_16x16x32_fp8_fp8 v[116:119], a[150:151], a[62:63], v[116:119]// 00000000919C: D3F30074 1DD27D96
	v_mfma_f32_16x16x32_fp8_fp8 v[120:123], a[144:145], a[64:65], v[120:123]// 0000000091A4: D3F30078 1DE28190
	buffer_load_dword v80, s[20:23], 0 offen lds               // 0000000091AC: E0511000 80050050
	s_add_u32 m0, 0xf00, s50                                   // 0000000091B4: 807C32FF 00000F00
	v_mfma_f32_16x16x32_fp8_fp8 v[120:123], a[146:147], a[66:67], v[120:123]// 0000000091BC: D3F30078 1DE28592
	v_mfma_f32_16x16x32_fp8_fp8 v[120:123], a[148:149], a[68:69], v[120:123]// 0000000091C4: D3F30078 1DE28994
	buffer_load_dword v81, s[20:23], 0 offen lds               // 0000000091CC: E0511000 80050051
	s_add_u32 m0, 0x1000, s50                                  // 0000000091D4: 807C32FF 00001000
	v_mfma_f32_16x16x32_fp8_fp8 v[120:123], a[150:151], a[70:71], v[120:123]// 0000000091DC: D3F30078 1DE28D96
	buffer_load_dword v82, s[20:23], 0 offen lds               // 0000000091E4: E0511000 80050052
	s_add_u32 m0, 0x1100, s50                                  // 0000000091EC: 807C32FF 00001100
	buffer_load_dword v83, s[20:23], 0 offen lds               // 0000000091F4: E0511000 80050053
	s_add_u32 m0, 0, s48                                       // 0000000091FC: 807C3080
	s_waitcnt vmcnt(20)                                        // 000000009200: BF8C4F74
	s_barrier                                                  // 000000009204: BF8A0000
	v_mfma_f32_16x16x32_fp8_fp8 v[124:127], a[152:153], a[0:1], v[124:127]// 000000009208: D3F3007C 1DF20198
	buffer_load_dwordx4 a[144:147], v84, s[84:87], 0 offen     // 000000009210: E05C1000 80959054
	v_mfma_f32_16x16x32_fp8_fp8 v[124:127], a[154:155], a[2:3], v[124:127]// 000000009218: D3F3007C 1DF2059A
	v_mfma_f32_16x16x32_fp8_fp8 v[124:127], a[156:157], a[4:5], v[124:127]// 000000009220: D3F3007C 1DF2099C
	ds_read_b128 a[72:75], v2 offset:18560                     // 000000009228: DBFE4880 48000002
	ds_read_b128 a[76:79], v2 offset:18624                     // 000000009230: DBFE48C0 4C000002
	v_mfma_f32_16x16x32_fp8_fp8 v[124:127], a[158:159], a[6:7], v[124:127]// 000000009238: D3F3007C 1DF20D9E
	v_mfma_f32_16x16x32_fp8_fp8 v[128:131], a[152:153], a[8:9], v[128:131]// 000000009240: D3F30080 1E021198
	buffer_load_dwordx4 a[148:151], v84, s[84:87], 0 offen offset:1024// 000000009248: E05C1400 80959454
	v_mfma_f32_16x16x32_fp8_fp8 v[128:131], a[154:155], a[10:11], v[128:131]// 000000009250: D3F30080 1E02159A
	v_mfma_f32_16x16x32_fp8_fp8 v[128:131], a[156:157], a[12:13], v[128:131]// 000000009258: D3F30080 1E02199C
	ds_read_b128 a[80:83], v2 offset:19072                     // 000000009260: DBFE4A80 50000002
	ds_read_b128 a[84:87], v2 offset:19136                     // 000000009268: DBFE4AC0 54000002
	v_mfma_f32_16x16x32_fp8_fp8 v[128:131], a[158:159], a[14:15], v[128:131]// 000000009270: D3F30080 1E021D9E
	v_mfma_f32_16x16x32_fp8_fp8 v[132:135], a[152:153], a[16:17], v[132:135]// 000000009278: D3F30084 1E122198
	v_mfma_f32_16x16x32_fp8_fp8 v[132:135], a[154:155], a[18:19], v[132:135]// 000000009280: D3F30084 1E12259A
	v_mfma_f32_16x16x32_fp8_fp8 v[132:135], a[156:157], a[20:21], v[132:135]// 000000009288: D3F30084 1E12299C
	ds_read_b128 a[88:91], v2 offset:19584                     // 000000009290: DBFE4C80 58000002
	ds_read_b128 a[92:95], v2 offset:19648                     // 000000009298: DBFE4CC0 5C000002
	v_mfma_f32_16x16x32_fp8_fp8 v[132:135], a[158:159], a[22:23], v[132:135]// 0000000092A0: D3F30084 1E122D9E
	v_mfma_f32_16x16x32_fp8_fp8 v[136:139], a[152:153], a[24:25], v[136:139]// 0000000092A8: D3F30088 1E223198
	v_mfma_f32_16x16x32_fp8_fp8 v[136:139], a[154:155], a[26:27], v[136:139]// 0000000092B0: D3F30088 1E22359A
	v_mfma_f32_16x16x32_fp8_fp8 v[136:139], a[156:157], a[28:29], v[136:139]// 0000000092B8: D3F30088 1E22399C
	ds_read_b128 a[96:99], v2 offset:20096                     // 0000000092C0: DBFE4E80 60000002
	ds_read_b128 a[100:103], v2 offset:20160                   // 0000000092C8: DBFE4EC0 64000002
	v_mfma_f32_16x16x32_fp8_fp8 v[136:139], a[158:159], a[30:31], v[136:139]// 0000000092D0: D3F30088 1E223D9E
	v_mfma_f32_16x16x32_fp8_fp8 v[140:143], a[152:153], a[32:33], v[140:143]// 0000000092D8: D3F3008C 1E324198
	v_mfma_f32_16x16x32_fp8_fp8 v[140:143], a[154:155], a[34:35], v[140:143]// 0000000092E0: D3F3008C 1E32459A
	v_mfma_f32_16x16x32_fp8_fp8 v[140:143], a[156:157], a[36:37], v[140:143]// 0000000092E8: D3F3008C 1E32499C
	ds_read_b128 a[104:107], v2 offset:20608                   // 0000000092F0: DBFE5080 68000002
	ds_read_b128 a[108:111], v2 offset:20672                   // 0000000092F8: DBFE50C0 6C000002
	v_mfma_f32_16x16x32_fp8_fp8 v[140:143], a[158:159], a[38:39], v[140:143]// 000000009300: D3F3008C 1E324D9E
	v_mfma_f32_16x16x32_fp8_fp8 v[144:147], a[152:153], a[40:41], v[144:147]// 000000009308: D3F30090 1E425198
	v_mfma_f32_16x16x32_fp8_fp8 v[144:147], a[154:155], a[42:43], v[144:147]// 000000009310: D3F30090 1E42559A
	v_mfma_f32_16x16x32_fp8_fp8 v[144:147], a[156:157], a[44:45], v[144:147]// 000000009318: D3F30090 1E42599C
	ds_read_b128 a[112:115], v2 offset:21120                   // 000000009320: DBFE5280 70000002
	ds_read_b128 a[116:119], v2 offset:21184                   // 000000009328: DBFE52C0 74000002
	v_mfma_f32_16x16x32_fp8_fp8 v[144:147], a[158:159], a[46:47], v[144:147]// 000000009330: D3F30090 1E425D9E
	v_mfma_f32_16x16x32_fp8_fp8 v[148:151], a[152:153], a[48:49], v[148:151]// 000000009338: D3F30094 1E526198
	v_mfma_f32_16x16x32_fp8_fp8 v[148:151], a[154:155], a[50:51], v[148:151]// 000000009340: D3F30094 1E52659A
	v_mfma_f32_16x16x32_fp8_fp8 v[148:151], a[156:157], a[52:53], v[148:151]// 000000009348: D3F30094 1E52699C
	ds_read_b128 a[120:123], v2 offset:21632                   // 000000009350: DBFE5480 78000002
	ds_read_b128 a[124:127], v2 offset:21696                   // 000000009358: DBFE54C0 7C000002
	v_mfma_f32_16x16x32_fp8_fp8 v[148:151], a[158:159], a[54:55], v[148:151]// 000000009360: D3F30094 1E526D9E
	v_mfma_f32_16x16x32_fp8_fp8 v[152:155], a[152:153], a[56:57], v[152:155]// 000000009368: D3F30098 1E627198
	s_add_u32 s60, 0x180, s80                                  // 000000009370: 803C50FF 00000180
	s_cmp_lt_u32 s60, s81                                      // 000000009378: BF0A513C
	s_cselect_b32 s57, s57, 0                                  // 00000000937C: 85398039
	v_mfma_f32_16x16x32_fp8_fp8 v[152:155], a[154:155], a[58:59], v[152:155]// 000000009380: D3F30098 1E62759A
	s_add_u32 s60, 0x100, s80                                  // 000000009388: 803C50FF 00000100
	s_cmp_lt_u32 s60, s81                                      // 000000009390: BF0A513C
	s_cselect_b32 s58, s58, 0                                  // 000000009394: 853A803A
	v_mfma_f32_16x16x32_fp8_fp8 v[152:155], a[156:157], a[60:61], v[152:155]// 000000009398: D3F30098 1E62799C
	ds_read_b128 a[128:131], v2 offset:22144                   // 0000000093A0: DBFE5680 80000002
	ds_read_b128 a[132:135], v2 offset:22208                   // 0000000093A8: DBFE56C0 84000002
	s_add_u32 s60, 0x100, s80                                  // 0000000093B0: 803C50FF 00000100
	s_cmp_lt_u32 s60, s81                                      // 0000000093B8: BF0A513C
	s_cselect_b32 s83, s83, 0                                  // 0000000093BC: 85538053
	v_mfma_f32_16x16x32_fp8_fp8 v[152:155], a[158:159], a[62:63], v[152:155]// 0000000093C0: D3F30098 1E627D9E
	s_add_u32 s24, s58, s24                                    // 0000000093C8: 8018183A
	s_addc_u32 s25, 0, s25                                     // 0000000093CC: 82191980
	v_mfma_f32_16x16x32_fp8_fp8 v[156:159], a[152:153], a[64:65], v[156:159]// 0000000093D0: D3F3009C 1E728198
	s_add_u32 s20, s57, s20                                    // 0000000093D8: 80141439
	s_addc_u32 s21, 0, s21                                     // 0000000093DC: 82151580
	v_mfma_f32_16x16x32_fp8_fp8 v[156:159], a[154:155], a[66:67], v[156:159]// 0000000093E0: D3F3009C 1E72859A
	s_add_u32 s84, s83, s84                                    // 0000000093E8: 80545453
	s_addc_u32 s85, 0, s85                                     // 0000000093EC: 82555580
	v_mfma_f32_16x16x32_fp8_fp8 v[156:159], a[156:157], a[68:69], v[156:159]// 0000000093F0: D3F3009C 1E72899C
	ds_read_b128 a[136:139], v2 offset:22656                   // 0000000093F8: DBFE5880 88000002
	ds_read_b128 a[140:143], v2 offset:22720                   // 000000009400: DBFE58C0 8C000002
	v_mfma_f32_16x16x32_fp8_fp8 v[156:159], a[158:159], a[70:71], v[156:159]// 000000009408: D3F3009C 1E728D9E
	s_addk_i32 s80, 0x80                                       // 000000009410: B7500080
	s_cmp_lt_i32 s80, s81                                      // 000000009414: BF045150
	s_cbranch_scc0 label_2012                                  // 000000009418: BF840588
	s_waitcnt vmcnt(20) lgkmcnt(0)                             // 00000000941C: BF8C4074
	v_mfma_f32_16x16x32_fp8_fp8 v[88:91], a[160:161], a[72:73], v[88:91]// 000000009420: D3F30058 1D6291A0
	buffer_load_dwordx4 a[152:155], v84, s[24:27], 0 offen     // 000000009428: E05C1000 80869854
	v_mfma_f32_16x16x32_fp8_fp8 v[88:91], a[162:163], a[74:75], v[88:91]// 000000009430: D3F30058 1D6295A2
	v_mfma_f32_16x16x32_fp8_fp8 v[88:91], a[164:165], a[76:77], v[88:91]// 000000009438: D3F30058 1D6299A4
	v_mfma_f32_16x16x32_fp8_fp8 v[88:91], a[166:167], a[78:79], v[88:91]// 000000009440: D3F30058 1D629DA6
	v_mfma_f32_16x16x32_fp8_fp8 v[92:95], a[160:161], a[80:81], v[92:95]// 000000009448: D3F3005C 1D72A1A0
	buffer_load_dwordx4 a[156:159], v84, s[24:27], 0 offen offset:1024// 000000009450: E05C1400 80869C54
	buffer_load_dword v66, s[20:23], 0 offen lds               // 000000009458: E0511000 80050042
	s_add_u32 m0, 0x100, s48                                   // 000000009460: 807C30FF 00000100
	v_mfma_f32_16x16x32_fp8_fp8 v[92:95], a[162:163], a[82:83], v[92:95]// 000000009468: D3F3005C 1D72A5A2
	v_mfma_f32_16x16x32_fp8_fp8 v[92:95], a[164:165], a[84:85], v[92:95]// 000000009470: D3F3005C 1D72A9A4
	buffer_load_dword v67, s[20:23], 0 offen lds               // 000000009478: E0511000 80050043
	s_add_u32 m0, 0x200, s48                                   // 000000009480: 807C30FF 00000200
	v_mfma_f32_16x16x32_fp8_fp8 v[92:95], a[166:167], a[86:87], v[92:95]// 000000009488: D3F3005C 1D72ADA6
	v_mfma_f32_16x16x32_fp8_fp8 v[96:99], a[160:161], a[88:89], v[96:99]// 000000009490: D3F30060 1D82B1A0
	buffer_load_dword v68, s[20:23], 0 offen lds               // 000000009498: E0511000 80050044
	s_add_u32 m0, 0x300, s48                                   // 0000000094A0: 807C30FF 00000300
	v_mfma_f32_16x16x32_fp8_fp8 v[96:99], a[162:163], a[90:91], v[96:99]// 0000000094A8: D3F30060 1D82B5A2
	v_mfma_f32_16x16x32_fp8_fp8 v[96:99], a[164:165], a[92:93], v[96:99]// 0000000094B0: D3F30060 1D82B9A4
	buffer_load_dword v69, s[20:23], 0 offen lds               // 0000000094B8: E0511000 80050045
	s_add_u32 m0, 0x400, s48                                   // 0000000094C0: 807C30FF 00000400
	v_mfma_f32_16x16x32_fp8_fp8 v[96:99], a[166:167], a[94:95], v[96:99]// 0000000094C8: D3F30060 1D82BDA6
	v_mfma_f32_16x16x32_fp8_fp8 v[100:103], a[160:161], a[96:97], v[100:103]// 0000000094D0: D3F30064 1D92C1A0
	buffer_load_dword v70, s[20:23], 0 offen lds               // 0000000094D8: E0511000 80050046
	s_add_u32 m0, 0x500, s48                                   // 0000000094E0: 807C30FF 00000500
	v_mfma_f32_16x16x32_fp8_fp8 v[100:103], a[162:163], a[98:99], v[100:103]// 0000000094E8: D3F30064 1D92C5A2
	v_mfma_f32_16x16x32_fp8_fp8 v[100:103], a[164:165], a[100:101], v[100:103]// 0000000094F0: D3F30064 1D92C9A4
	buffer_load_dword v71, s[20:23], 0 offen lds               // 0000000094F8: E0511000 80050047
	s_add_u32 m0, 0x600, s48                                   // 000000009500: 807C30FF 00000600
	v_mfma_f32_16x16x32_fp8_fp8 v[100:103], a[166:167], a[102:103], v[100:103]// 000000009508: D3F30064 1D92CDA6
	v_mfma_f32_16x16x32_fp8_fp8 v[104:107], a[160:161], a[104:105], v[104:107]// 000000009510: D3F30068 1DA2D1A0
	buffer_load_dword v72, s[20:23], 0 offen lds               // 000000009518: E0511000 80050048
	s_add_u32 m0, 0x700, s48                                   // 000000009520: 807C30FF 00000700
	v_mfma_f32_16x16x32_fp8_fp8 v[104:107], a[162:163], a[106:107], v[104:107]// 000000009528: D3F30068 1DA2D5A2
	v_mfma_f32_16x16x32_fp8_fp8 v[104:107], a[164:165], a[108:109], v[104:107]// 000000009530: D3F30068 1DA2D9A4
	buffer_load_dword v73, s[20:23], 0 offen lds               // 000000009538: E0511000 80050049
	s_add_u32 m0, 0x800, s48                                   // 000000009540: 807C30FF 00000800
	v_mfma_f32_16x16x32_fp8_fp8 v[104:107], a[166:167], a[110:111], v[104:107]// 000000009548: D3F30068 1DA2DDA6
	v_mfma_f32_16x16x32_fp8_fp8 v[108:111], a[160:161], a[112:113], v[108:111]// 000000009550: D3F3006C 1DB2E1A0
	buffer_load_dword v74, s[20:23], 0 offen lds               // 000000009558: E0511000 8005004A
	s_add_u32 m0, 0x900, s48                                   // 000000009560: 807C30FF 00000900
	v_mfma_f32_16x16x32_fp8_fp8 v[108:111], a[162:163], a[114:115], v[108:111]// 000000009568: D3F3006C 1DB2E5A2
	v_mfma_f32_16x16x32_fp8_fp8 v[108:111], a[164:165], a[116:117], v[108:111]// 000000009570: D3F3006C 1DB2E9A4
	buffer_load_dword v75, s[20:23], 0 offen lds               // 000000009578: E0511000 8005004B
	s_add_u32 m0, 0xa00, s48                                   // 000000009580: 807C30FF 00000A00
	v_mfma_f32_16x16x32_fp8_fp8 v[108:111], a[166:167], a[118:119], v[108:111]// 000000009588: D3F3006C 1DB2EDA6
	v_mfma_f32_16x16x32_fp8_fp8 v[112:115], a[160:161], a[120:121], v[112:115]// 000000009590: D3F30070 1DC2F1A0
	buffer_load_dword v76, s[20:23], 0 offen lds               // 000000009598: E0511000 8005004C
	s_add_u32 m0, 0xb00, s48                                   // 0000000095A0: 807C30FF 00000B00
	v_mfma_f32_16x16x32_fp8_fp8 v[112:115], a[162:163], a[122:123], v[112:115]// 0000000095A8: D3F30070 1DC2F5A2
	v_mfma_f32_16x16x32_fp8_fp8 v[112:115], a[164:165], a[124:125], v[112:115]// 0000000095B0: D3F30070 1DC2F9A4
	buffer_load_dword v77, s[20:23], 0 offen lds               // 0000000095B8: E0511000 8005004D
	s_add_u32 m0, 0xc00, s48                                   // 0000000095C0: 807C30FF 00000C00
	v_mfma_f32_16x16x32_fp8_fp8 v[112:115], a[166:167], a[126:127], v[112:115]// 0000000095C8: D3F30070 1DC2FDA6
	v_mfma_f32_16x16x32_fp8_fp8 v[116:119], a[160:161], a[128:129], v[116:119]// 0000000095D0: D3F30074 1DD301A0
	buffer_load_dword v78, s[20:23], 0 offen lds               // 0000000095D8: E0511000 8005004E
	s_add_u32 m0, 0xd00, s48                                   // 0000000095E0: 807C30FF 00000D00
	v_mfma_f32_16x16x32_fp8_fp8 v[116:119], a[162:163], a[130:131], v[116:119]// 0000000095E8: D3F30074 1DD305A2
	v_mfma_f32_16x16x32_fp8_fp8 v[116:119], a[164:165], a[132:133], v[116:119]// 0000000095F0: D3F30074 1DD309A4
	buffer_load_dword v79, s[20:23], 0 offen lds               // 0000000095F8: E0511000 8005004F
	s_add_u32 m0, 0xe00, s48                                   // 000000009600: 807C30FF 00000E00
	v_mfma_f32_16x16x32_fp8_fp8 v[116:119], a[166:167], a[134:135], v[116:119]// 000000009608: D3F30074 1DD30DA6
	v_mfma_f32_16x16x32_fp8_fp8 v[120:123], a[160:161], a[136:137], v[120:123]// 000000009610: D3F30078 1DE311A0
	buffer_load_dword v80, s[20:23], 0 offen lds               // 000000009618: E0511000 80050050
	s_add_u32 m0, 0xf00, s48                                   // 000000009620: 807C30FF 00000F00
	v_mfma_f32_16x16x32_fp8_fp8 v[120:123], a[162:163], a[138:139], v[120:123]// 000000009628: D3F30078 1DE315A2
	v_mfma_f32_16x16x32_fp8_fp8 v[120:123], a[164:165], a[140:141], v[120:123]// 000000009630: D3F30078 1DE319A4
	buffer_load_dword v81, s[20:23], 0 offen lds               // 000000009638: E0511000 80050051
	s_add_u32 m0, 0x1000, s48                                  // 000000009640: 807C30FF 00001000
	v_mfma_f32_16x16x32_fp8_fp8 v[120:123], a[166:167], a[142:143], v[120:123]// 000000009648: D3F30078 1DE31DA6
	buffer_load_dword v82, s[20:23], 0 offen lds               // 000000009650: E0511000 80050052
	s_add_u32 m0, 0x1100, s48                                  // 000000009658: 807C30FF 00001100
	buffer_load_dword v83, s[20:23], 0 offen lds               // 000000009660: E0511000 80050053
	s_add_u32 m0, 0, s49                                       // 000000009668: 807C3180
	s_waitcnt vmcnt(20)                                        // 00000000966C: BF8C4F74
	s_barrier                                                  // 000000009670: BF8A0000
	v_mfma_f32_16x16x32_fp8_fp8 v[124:127], a[144:145], a[72:73], v[124:127]// 000000009674: D3F3007C 1DF29190
	buffer_load_dwordx4 a[160:163], v84, s[84:87], 0 offen     // 00000000967C: E05C1000 8095A054
	v_mfma_f32_16x16x32_fp8_fp8 v[124:127], a[146:147], a[74:75], v[124:127]// 000000009684: D3F3007C 1DF29592
	v_mfma_f32_16x16x32_fp8_fp8 v[124:127], a[148:149], a[76:77], v[124:127]// 00000000968C: D3F3007C 1DF29994
	ds_read_b128 a[0:3], v2 offset:37120                       // 000000009694: DBFE9100 00000002
	ds_read_b128 a[4:7], v2 offset:37184                       // 00000000969C: DBFE9140 04000002
	v_mfma_f32_16x16x32_fp8_fp8 v[124:127], a[150:151], a[78:79], v[124:127]// 0000000096A4: D3F3007C 1DF29D96
	v_mfma_f32_16x16x32_fp8_fp8 v[128:131], a[144:145], a[80:81], v[128:131]// 0000000096AC: D3F30080 1E02A190
	buffer_load_dwordx4 a[164:167], v84, s[84:87], 0 offen offset:1024// 0000000096B4: E05C1400 8095A454
	v_mfma_f32_16x16x32_fp8_fp8 v[128:131], a[146:147], a[82:83], v[128:131]// 0000000096BC: D3F30080 1E02A592
	v_mfma_f32_16x16x32_fp8_fp8 v[128:131], a[148:149], a[84:85], v[128:131]// 0000000096C4: D3F30080 1E02A994
	ds_read_b128 a[8:11], v2 offset:37632                      // 0000000096CC: DBFE9300 08000002
	ds_read_b128 a[12:15], v2 offset:37696                     // 0000000096D4: DBFE9340 0C000002
	v_mfma_f32_16x16x32_fp8_fp8 v[128:131], a[150:151], a[86:87], v[128:131]// 0000000096DC: D3F30080 1E02AD96
	v_mfma_f32_16x16x32_fp8_fp8 v[132:135], a[144:145], a[88:89], v[132:135]// 0000000096E4: D3F30084 1E12B190
	v_mfma_f32_16x16x32_fp8_fp8 v[132:135], a[146:147], a[90:91], v[132:135]// 0000000096EC: D3F30084 1E12B592
	v_mfma_f32_16x16x32_fp8_fp8 v[132:135], a[148:149], a[92:93], v[132:135]// 0000000096F4: D3F30084 1E12B994
	ds_read_b128 a[16:19], v2 offset:38144                     // 0000000096FC: DBFE9500 10000002
	ds_read_b128 a[20:23], v2 offset:38208                     // 000000009704: DBFE9540 14000002
	v_mfma_f32_16x16x32_fp8_fp8 v[132:135], a[150:151], a[94:95], v[132:135]// 00000000970C: D3F30084 1E12BD96
	v_mfma_f32_16x16x32_fp8_fp8 v[136:139], a[144:145], a[96:97], v[136:139]// 000000009714: D3F30088 1E22C190
	v_mfma_f32_16x16x32_fp8_fp8 v[136:139], a[146:147], a[98:99], v[136:139]// 00000000971C: D3F30088 1E22C592
	v_mfma_f32_16x16x32_fp8_fp8 v[136:139], a[148:149], a[100:101], v[136:139]// 000000009724: D3F30088 1E22C994
	ds_read_b128 a[24:27], v2 offset:38656                     // 00000000972C: DBFE9700 18000002
	ds_read_b128 a[28:31], v2 offset:38720                     // 000000009734: DBFE9740 1C000002
	v_mfma_f32_16x16x32_fp8_fp8 v[136:139], a[150:151], a[102:103], v[136:139]// 00000000973C: D3F30088 1E22CD96
	v_mfma_f32_16x16x32_fp8_fp8 v[140:143], a[144:145], a[104:105], v[140:143]// 000000009744: D3F3008C 1E32D190
	v_mfma_f32_16x16x32_fp8_fp8 v[140:143], a[146:147], a[106:107], v[140:143]// 00000000974C: D3F3008C 1E32D592
	v_mfma_f32_16x16x32_fp8_fp8 v[140:143], a[148:149], a[108:109], v[140:143]// 000000009754: D3F3008C 1E32D994
	ds_read_b128 a[32:35], v2 offset:39168                     // 00000000975C: DBFE9900 20000002
	ds_read_b128 a[36:39], v2 offset:39232                     // 000000009764: DBFE9940 24000002
	v_mfma_f32_16x16x32_fp8_fp8 v[140:143], a[150:151], a[110:111], v[140:143]// 00000000976C: D3F3008C 1E32DD96
	v_mfma_f32_16x16x32_fp8_fp8 v[144:147], a[144:145], a[112:113], v[144:147]// 000000009774: D3F30090 1E42E190
	v_mfma_f32_16x16x32_fp8_fp8 v[144:147], a[146:147], a[114:115], v[144:147]// 00000000977C: D3F30090 1E42E592
	v_mfma_f32_16x16x32_fp8_fp8 v[144:147], a[148:149], a[116:117], v[144:147]// 000000009784: D3F30090 1E42E994
	ds_read_b128 a[40:43], v2 offset:39680                     // 00000000978C: DBFE9B00 28000002
	ds_read_b128 a[44:47], v2 offset:39744                     // 000000009794: DBFE9B40 2C000002
	v_mfma_f32_16x16x32_fp8_fp8 v[144:147], a[150:151], a[118:119], v[144:147]// 00000000979C: D3F30090 1E42ED96
	v_mfma_f32_16x16x32_fp8_fp8 v[148:151], a[144:145], a[120:121], v[148:151]// 0000000097A4: D3F30094 1E52F190
	v_mfma_f32_16x16x32_fp8_fp8 v[148:151], a[146:147], a[122:123], v[148:151]// 0000000097AC: D3F30094 1E52F592
	v_mfma_f32_16x16x32_fp8_fp8 v[148:151], a[148:149], a[124:125], v[148:151]// 0000000097B4: D3F30094 1E52F994
	ds_read_b128 a[48:51], v2 offset:40192                     // 0000000097BC: DBFE9D00 30000002
	ds_read_b128 a[52:55], v2 offset:40256                     // 0000000097C4: DBFE9D40 34000002
	v_mfma_f32_16x16x32_fp8_fp8 v[148:151], a[150:151], a[126:127], v[148:151]// 0000000097CC: D3F30094 1E52FD96
	v_mfma_f32_16x16x32_fp8_fp8 v[152:155], a[144:145], a[128:129], v[152:155]// 0000000097D4: D3F30098 1E630190
	s_add_u32 s60, 0x180, s80                                  // 0000000097DC: 803C50FF 00000180
	s_cmp_lt_u32 s60, s81                                      // 0000000097E4: BF0A513C
	s_cselect_b32 s57, s57, 0                                  // 0000000097E8: 85398039
	v_mfma_f32_16x16x32_fp8_fp8 v[152:155], a[146:147], a[130:131], v[152:155]// 0000000097EC: D3F30098 1E630592
	s_add_u32 s60, 0x100, s80                                  // 0000000097F4: 803C50FF 00000100
	s_cmp_lt_u32 s60, s81                                      // 0000000097FC: BF0A513C
	s_cselect_b32 s58, s58, 0                                  // 000000009800: 853A803A
	v_mfma_f32_16x16x32_fp8_fp8 v[152:155], a[148:149], a[132:133], v[152:155]// 000000009804: D3F30098 1E630994
	ds_read_b128 a[56:59], v2 offset:40704                     // 00000000980C: DBFE9F00 38000002
	ds_read_b128 a[60:63], v2 offset:40768                     // 000000009814: DBFE9F40 3C000002
	s_add_u32 s60, 0x100, s80                                  // 00000000981C: 803C50FF 00000100
	s_cmp_lt_u32 s60, s81                                      // 000000009824: BF0A513C
	s_cselect_b32 s83, s83, 0                                  // 000000009828: 85538053
	v_mfma_f32_16x16x32_fp8_fp8 v[152:155], a[150:151], a[134:135], v[152:155]// 00000000982C: D3F30098 1E630D96
	s_add_u32 s24, s58, s24                                    // 000000009834: 8018183A
	s_addc_u32 s25, 0, s25                                     // 000000009838: 82191980
	v_mfma_f32_16x16x32_fp8_fp8 v[156:159], a[144:145], a[136:137], v[156:159]// 00000000983C: D3F3009C 1E731190
	s_add_u32 s20, s57, s20                                    // 000000009844: 80141439
	s_addc_u32 s21, 0, s21                                     // 000000009848: 82151580
	v_mfma_f32_16x16x32_fp8_fp8 v[156:159], a[146:147], a[138:139], v[156:159]// 00000000984C: D3F3009C 1E731592
	s_add_u32 s84, s83, s84                                    // 000000009854: 80545453
	s_addc_u32 s85, 0, s85                                     // 000000009858: 82555580
	v_mfma_f32_16x16x32_fp8_fp8 v[156:159], a[148:149], a[140:141], v[156:159]// 00000000985C: D3F3009C 1E731994
	ds_read_b128 a[64:67], v2 offset:41216                     // 000000009864: DBFEA100 40000002
	ds_read_b128 a[68:71], v2 offset:41280                     // 00000000986C: DBFEA140 44000002
	v_mfma_f32_16x16x32_fp8_fp8 v[156:159], a[150:151], a[142:143], v[156:159]// 000000009874: D3F3009C 1E731D96
	s_addk_i32 s80, 0x80                                       // 00000000987C: B7500080
	s_cmp_lt_i32 s80, s81                                      // 000000009880: BF045150
	s_cbranch_scc0 label_2012                                  // 000000009884: BF84046D
	s_waitcnt vmcnt(20) lgkmcnt(0)                             // 000000009888: BF8C4074
	v_mfma_f32_16x16x32_fp8_fp8 v[88:91], a[152:153], a[0:1], v[88:91]// 00000000988C: D3F30058 1D620198
	buffer_load_dwordx4 a[144:147], v84, s[24:27], 0 offen     // 000000009894: E05C1000 80869054
	v_mfma_f32_16x16x32_fp8_fp8 v[88:91], a[154:155], a[2:3], v[88:91]// 00000000989C: D3F30058 1D62059A
	v_mfma_f32_16x16x32_fp8_fp8 v[88:91], a[156:157], a[4:5], v[88:91]// 0000000098A4: D3F30058 1D62099C
	v_mfma_f32_16x16x32_fp8_fp8 v[88:91], a[158:159], a[6:7], v[88:91]// 0000000098AC: D3F30058 1D620D9E
	v_mfma_f32_16x16x32_fp8_fp8 v[92:95], a[152:153], a[8:9], v[92:95]// 0000000098B4: D3F3005C 1D721198
	buffer_load_dwordx4 a[148:151], v84, s[24:27], 0 offen offset:1024// 0000000098BC: E05C1400 80869454
	buffer_load_dword v66, s[20:23], 0 offen lds               // 0000000098C4: E0511000 80050042
	s_add_u32 m0, 0x100, s49                                   // 0000000098CC: 807C31FF 00000100
	v_mfma_f32_16x16x32_fp8_fp8 v[92:95], a[154:155], a[10:11], v[92:95]// 0000000098D4: D3F3005C 1D72159A
	v_mfma_f32_16x16x32_fp8_fp8 v[92:95], a[156:157], a[12:13], v[92:95]// 0000000098DC: D3F3005C 1D72199C
	buffer_load_dword v67, s[20:23], 0 offen lds               // 0000000098E4: E0511000 80050043
	s_add_u32 m0, 0x200, s49                                   // 0000000098EC: 807C31FF 00000200
	v_mfma_f32_16x16x32_fp8_fp8 v[92:95], a[158:159], a[14:15], v[92:95]// 0000000098F4: D3F3005C 1D721D9E
	v_mfma_f32_16x16x32_fp8_fp8 v[96:99], a[152:153], a[16:17], v[96:99]// 0000000098FC: D3F30060 1D822198
	buffer_load_dword v68, s[20:23], 0 offen lds               // 000000009904: E0511000 80050044
	s_add_u32 m0, 0x300, s49                                   // 00000000990C: 807C31FF 00000300
	v_mfma_f32_16x16x32_fp8_fp8 v[96:99], a[154:155], a[18:19], v[96:99]// 000000009914: D3F30060 1D82259A
	v_mfma_f32_16x16x32_fp8_fp8 v[96:99], a[156:157], a[20:21], v[96:99]// 00000000991C: D3F30060 1D82299C
	buffer_load_dword v69, s[20:23], 0 offen lds               // 000000009924: E0511000 80050045
	s_add_u32 m0, 0x400, s49                                   // 00000000992C: 807C31FF 00000400
	v_mfma_f32_16x16x32_fp8_fp8 v[96:99], a[158:159], a[22:23], v[96:99]// 000000009934: D3F30060 1D822D9E
	v_mfma_f32_16x16x32_fp8_fp8 v[100:103], a[152:153], a[24:25], v[100:103]// 00000000993C: D3F30064 1D923198
	buffer_load_dword v70, s[20:23], 0 offen lds               // 000000009944: E0511000 80050046
	s_add_u32 m0, 0x500, s49                                   // 00000000994C: 807C31FF 00000500
	v_mfma_f32_16x16x32_fp8_fp8 v[100:103], a[154:155], a[26:27], v[100:103]// 000000009954: D3F30064 1D92359A
	v_mfma_f32_16x16x32_fp8_fp8 v[100:103], a[156:157], a[28:29], v[100:103]// 00000000995C: D3F30064 1D92399C
	buffer_load_dword v71, s[20:23], 0 offen lds               // 000000009964: E0511000 80050047
	s_add_u32 m0, 0x600, s49                                   // 00000000996C: 807C31FF 00000600
	v_mfma_f32_16x16x32_fp8_fp8 v[100:103], a[158:159], a[30:31], v[100:103]// 000000009974: D3F30064 1D923D9E
	v_mfma_f32_16x16x32_fp8_fp8 v[104:107], a[152:153], a[32:33], v[104:107]// 00000000997C: D3F30068 1DA24198
	buffer_load_dword v72, s[20:23], 0 offen lds               // 000000009984: E0511000 80050048
	s_add_u32 m0, 0x700, s49                                   // 00000000998C: 807C31FF 00000700
	v_mfma_f32_16x16x32_fp8_fp8 v[104:107], a[154:155], a[34:35], v[104:107]// 000000009994: D3F30068 1DA2459A
	v_mfma_f32_16x16x32_fp8_fp8 v[104:107], a[156:157], a[36:37], v[104:107]// 00000000999C: D3F30068 1DA2499C
	buffer_load_dword v73, s[20:23], 0 offen lds               // 0000000099A4: E0511000 80050049
	s_add_u32 m0, 0x800, s49                                   // 0000000099AC: 807C31FF 00000800
	v_mfma_f32_16x16x32_fp8_fp8 v[104:107], a[158:159], a[38:39], v[104:107]// 0000000099B4: D3F30068 1DA24D9E
	v_mfma_f32_16x16x32_fp8_fp8 v[108:111], a[152:153], a[40:41], v[108:111]// 0000000099BC: D3F3006C 1DB25198
	buffer_load_dword v74, s[20:23], 0 offen lds               // 0000000099C4: E0511000 8005004A
	s_add_u32 m0, 0x900, s49                                   // 0000000099CC: 807C31FF 00000900
	v_mfma_f32_16x16x32_fp8_fp8 v[108:111], a[154:155], a[42:43], v[108:111]// 0000000099D4: D3F3006C 1DB2559A
	v_mfma_f32_16x16x32_fp8_fp8 v[108:111], a[156:157], a[44:45], v[108:111]// 0000000099DC: D3F3006C 1DB2599C
	buffer_load_dword v75, s[20:23], 0 offen lds               // 0000000099E4: E0511000 8005004B
	s_add_u32 m0, 0xa00, s49                                   // 0000000099EC: 807C31FF 00000A00
	v_mfma_f32_16x16x32_fp8_fp8 v[108:111], a[158:159], a[46:47], v[108:111]// 0000000099F4: D3F3006C 1DB25D9E
	v_mfma_f32_16x16x32_fp8_fp8 v[112:115], a[152:153], a[48:49], v[112:115]// 0000000099FC: D3F30070 1DC26198
	buffer_load_dword v76, s[20:23], 0 offen lds               // 000000009A04: E0511000 8005004C
	s_add_u32 m0, 0xb00, s49                                   // 000000009A0C: 807C31FF 00000B00
	v_mfma_f32_16x16x32_fp8_fp8 v[112:115], a[154:155], a[50:51], v[112:115]// 000000009A14: D3F30070 1DC2659A
	v_mfma_f32_16x16x32_fp8_fp8 v[112:115], a[156:157], a[52:53], v[112:115]// 000000009A1C: D3F30070 1DC2699C
	buffer_load_dword v77, s[20:23], 0 offen lds               // 000000009A24: E0511000 8005004D
	s_add_u32 m0, 0xc00, s49                                   // 000000009A2C: 807C31FF 00000C00
	v_mfma_f32_16x16x32_fp8_fp8 v[112:115], a[158:159], a[54:55], v[112:115]// 000000009A34: D3F30070 1DC26D9E
	v_mfma_f32_16x16x32_fp8_fp8 v[116:119], a[152:153], a[56:57], v[116:119]// 000000009A3C: D3F30074 1DD27198
	buffer_load_dword v78, s[20:23], 0 offen lds               // 000000009A44: E0511000 8005004E
	s_add_u32 m0, 0xd00, s49                                   // 000000009A4C: 807C31FF 00000D00
	v_mfma_f32_16x16x32_fp8_fp8 v[116:119], a[154:155], a[58:59], v[116:119]// 000000009A54: D3F30074 1DD2759A
	v_mfma_f32_16x16x32_fp8_fp8 v[116:119], a[156:157], a[60:61], v[116:119]// 000000009A5C: D3F30074 1DD2799C
	buffer_load_dword v79, s[20:23], 0 offen lds               // 000000009A64: E0511000 8005004F
	s_add_u32 m0, 0xe00, s49                                   // 000000009A6C: 807C31FF 00000E00
	v_mfma_f32_16x16x32_fp8_fp8 v[116:119], a[158:159], a[62:63], v[116:119]// 000000009A74: D3F30074 1DD27D9E
	v_mfma_f32_16x16x32_fp8_fp8 v[120:123], a[152:153], a[64:65], v[120:123]// 000000009A7C: D3F30078 1DE28198
	buffer_load_dword v80, s[20:23], 0 offen lds               // 000000009A84: E0511000 80050050
	s_add_u32 m0, 0xf00, s49                                   // 000000009A8C: 807C31FF 00000F00
	v_mfma_f32_16x16x32_fp8_fp8 v[120:123], a[154:155], a[66:67], v[120:123]// 000000009A94: D3F30078 1DE2859A
	v_mfma_f32_16x16x32_fp8_fp8 v[120:123], a[156:157], a[68:69], v[120:123]// 000000009A9C: D3F30078 1DE2899C
	buffer_load_dword v81, s[20:23], 0 offen lds               // 000000009AA4: E0511000 80050051
	s_add_u32 m0, 0x1000, s49                                  // 000000009AAC: 807C31FF 00001000
	v_mfma_f32_16x16x32_fp8_fp8 v[120:123], a[158:159], a[70:71], v[120:123]// 000000009AB4: D3F30078 1DE28D9E
	buffer_load_dword v82, s[20:23], 0 offen lds               // 000000009ABC: E0511000 80050052
	s_add_u32 m0, 0x1100, s49                                  // 000000009AC4: 807C31FF 00001100
	buffer_load_dword v83, s[20:23], 0 offen lds               // 000000009ACC: E0511000 80050053
	s_add_u32 m0, 0, s50                                       // 000000009AD4: 807C3280
	s_waitcnt vmcnt(20)                                        // 000000009AD8: BF8C4F74
	s_barrier                                                  // 000000009ADC: BF8A0000
	v_mfma_f32_16x16x32_fp8_fp8 v[124:127], a[160:161], a[0:1], v[124:127]// 000000009AE0: D3F3007C 1DF201A0
	buffer_load_dwordx4 a[152:155], v84, s[84:87], 0 offen     // 000000009AE8: E05C1000 80959854
	v_mfma_f32_16x16x32_fp8_fp8 v[124:127], a[162:163], a[2:3], v[124:127]// 000000009AF0: D3F3007C 1DF205A2
	v_mfma_f32_16x16x32_fp8_fp8 v[124:127], a[164:165], a[4:5], v[124:127]// 000000009AF8: D3F3007C 1DF209A4
	ds_read_b128 a[72:75], v2                                  // 000000009B00: DBFE0000 48000002
	ds_read_b128 a[76:79], v2 offset:64                        // 000000009B08: DBFE0040 4C000002
	v_mfma_f32_16x16x32_fp8_fp8 v[124:127], a[166:167], a[6:7], v[124:127]// 000000009B10: D3F3007C 1DF20DA6
	v_mfma_f32_16x16x32_fp8_fp8 v[128:131], a[160:161], a[8:9], v[128:131]// 000000009B18: D3F30080 1E0211A0
	buffer_load_dwordx4 a[156:159], v84, s[84:87], 0 offen offset:1024// 000000009B20: E05C1400 80959C54
	v_mfma_f32_16x16x32_fp8_fp8 v[128:131], a[162:163], a[10:11], v[128:131]// 000000009B28: D3F30080 1E0215A2
	v_mfma_f32_16x16x32_fp8_fp8 v[128:131], a[164:165], a[12:13], v[128:131]// 000000009B30: D3F30080 1E0219A4
	ds_read_b128 a[80:83], v2 offset:512                       // 000000009B38: DBFE0200 50000002
	ds_read_b128 a[84:87], v2 offset:576                       // 000000009B40: DBFE0240 54000002
	v_mfma_f32_16x16x32_fp8_fp8 v[128:131], a[166:167], a[14:15], v[128:131]// 000000009B48: D3F30080 1E021DA6
	v_mfma_f32_16x16x32_fp8_fp8 v[132:135], a[160:161], a[16:17], v[132:135]// 000000009B50: D3F30084 1E1221A0
	v_mfma_f32_16x16x32_fp8_fp8 v[132:135], a[162:163], a[18:19], v[132:135]// 000000009B58: D3F30084 1E1225A2
	v_mfma_f32_16x16x32_fp8_fp8 v[132:135], a[164:165], a[20:21], v[132:135]// 000000009B60: D3F30084 1E1229A4
	ds_read_b128 a[88:91], v2 offset:1024                      // 000000009B68: DBFE0400 58000002
	ds_read_b128 a[92:95], v2 offset:1088                      // 000000009B70: DBFE0440 5C000002
	v_mfma_f32_16x16x32_fp8_fp8 v[132:135], a[166:167], a[22:23], v[132:135]// 000000009B78: D3F30084 1E122DA6
	v_mfma_f32_16x16x32_fp8_fp8 v[136:139], a[160:161], a[24:25], v[136:139]// 000000009B80: D3F30088 1E2231A0
	v_mfma_f32_16x16x32_fp8_fp8 v[136:139], a[162:163], a[26:27], v[136:139]// 000000009B88: D3F30088 1E2235A2
	v_mfma_f32_16x16x32_fp8_fp8 v[136:139], a[164:165], a[28:29], v[136:139]// 000000009B90: D3F30088 1E2239A4
	ds_read_b128 a[96:99], v2 offset:1536                      // 000000009B98: DBFE0600 60000002
	ds_read_b128 a[100:103], v2 offset:1600                    // 000000009BA0: DBFE0640 64000002
	v_mfma_f32_16x16x32_fp8_fp8 v[136:139], a[166:167], a[30:31], v[136:139]// 000000009BA8: D3F30088 1E223DA6
	v_mfma_f32_16x16x32_fp8_fp8 v[140:143], a[160:161], a[32:33], v[140:143]// 000000009BB0: D3F3008C 1E3241A0
	v_mfma_f32_16x16x32_fp8_fp8 v[140:143], a[162:163], a[34:35], v[140:143]// 000000009BB8: D3F3008C 1E3245A2
	v_mfma_f32_16x16x32_fp8_fp8 v[140:143], a[164:165], a[36:37], v[140:143]// 000000009BC0: D3F3008C 1E3249A4
	ds_read_b128 a[104:107], v2 offset:2048                    // 000000009BC8: DBFE0800 68000002
	ds_read_b128 a[108:111], v2 offset:2112                    // 000000009BD0: DBFE0840 6C000002
	v_mfma_f32_16x16x32_fp8_fp8 v[140:143], a[166:167], a[38:39], v[140:143]// 000000009BD8: D3F3008C 1E324DA6
	v_mfma_f32_16x16x32_fp8_fp8 v[144:147], a[160:161], a[40:41], v[144:147]// 000000009BE0: D3F30090 1E4251A0
	v_mfma_f32_16x16x32_fp8_fp8 v[144:147], a[162:163], a[42:43], v[144:147]// 000000009BE8: D3F30090 1E4255A2
	v_mfma_f32_16x16x32_fp8_fp8 v[144:147], a[164:165], a[44:45], v[144:147]// 000000009BF0: D3F30090 1E4259A4
	ds_read_b128 a[112:115], v2 offset:2560                    // 000000009BF8: DBFE0A00 70000002
	ds_read_b128 a[116:119], v2 offset:2624                    // 000000009C00: DBFE0A40 74000002
	v_mfma_f32_16x16x32_fp8_fp8 v[144:147], a[166:167], a[46:47], v[144:147]// 000000009C08: D3F30090 1E425DA6
	v_mfma_f32_16x16x32_fp8_fp8 v[148:151], a[160:161], a[48:49], v[148:151]// 000000009C10: D3F30094 1E5261A0
	v_mfma_f32_16x16x32_fp8_fp8 v[148:151], a[162:163], a[50:51], v[148:151]// 000000009C18: D3F30094 1E5265A2
	v_mfma_f32_16x16x32_fp8_fp8 v[148:151], a[164:165], a[52:53], v[148:151]// 000000009C20: D3F30094 1E5269A4
	ds_read_b128 a[120:123], v2 offset:3072                    // 000000009C28: DBFE0C00 78000002
	ds_read_b128 a[124:127], v2 offset:3136                    // 000000009C30: DBFE0C40 7C000002
	v_mfma_f32_16x16x32_fp8_fp8 v[148:151], a[166:167], a[54:55], v[148:151]// 000000009C38: D3F30094 1E526DA6
	v_mfma_f32_16x16x32_fp8_fp8 v[152:155], a[160:161], a[56:57], v[152:155]// 000000009C40: D3F30098 1E6271A0
	s_add_u32 s60, 0x180, s80                                  // 000000009C48: 803C50FF 00000180
	s_cmp_lt_u32 s60, s81                                      // 000000009C50: BF0A513C
	s_cselect_b32 s57, s57, 0                                  // 000000009C54: 85398039
	v_mfma_f32_16x16x32_fp8_fp8 v[152:155], a[162:163], a[58:59], v[152:155]// 000000009C58: D3F30098 1E6275A2
	s_add_u32 s60, 0x100, s80                                  // 000000009C60: 803C50FF 00000100
	s_cmp_lt_u32 s60, s81                                      // 000000009C68: BF0A513C
	s_cselect_b32 s58, s58, 0                                  // 000000009C6C: 853A803A
	v_mfma_f32_16x16x32_fp8_fp8 v[152:155], a[164:165], a[60:61], v[152:155]// 000000009C70: D3F30098 1E6279A4
	ds_read_b128 a[128:131], v2 offset:3584                    // 000000009C78: DBFE0E00 80000002
	ds_read_b128 a[132:135], v2 offset:3648                    // 000000009C80: DBFE0E40 84000002
	s_add_u32 s60, 0x100, s80                                  // 000000009C88: 803C50FF 00000100
	s_cmp_lt_u32 s60, s81                                      // 000000009C90: BF0A513C
	s_cselect_b32 s83, s83, 0                                  // 000000009C94: 85538053
	v_mfma_f32_16x16x32_fp8_fp8 v[152:155], a[166:167], a[62:63], v[152:155]// 000000009C98: D3F30098 1E627DA6
	s_add_u32 s24, s58, s24                                    // 000000009CA0: 8018183A
	s_addc_u32 s25, 0, s25                                     // 000000009CA4: 82191980
	v_mfma_f32_16x16x32_fp8_fp8 v[156:159], a[160:161], a[64:65], v[156:159]// 000000009CA8: D3F3009C 1E7281A0
	s_add_u32 s20, s57, s20                                    // 000000009CB0: 80141439
	s_addc_u32 s21, 0, s21                                     // 000000009CB4: 82151580
	v_mfma_f32_16x16x32_fp8_fp8 v[156:159], a[162:163], a[66:67], v[156:159]// 000000009CB8: D3F3009C 1E7285A2
	s_add_u32 s84, s83, s84                                    // 000000009CC0: 80545453
	s_addc_u32 s85, 0, s85                                     // 000000009CC4: 82555580
	v_mfma_f32_16x16x32_fp8_fp8 v[156:159], a[164:165], a[68:69], v[156:159]// 000000009CC8: D3F3009C 1E7289A4
	ds_read_b128 a[136:139], v2 offset:4096                    // 000000009CD0: DBFE1000 88000002
	ds_read_b128 a[140:143], v2 offset:4160                    // 000000009CD8: DBFE1040 8C000002
	v_mfma_f32_16x16x32_fp8_fp8 v[156:159], a[166:167], a[70:71], v[156:159]// 000000009CE0: D3F3009C 1E728DA6
	s_addk_i32 s80, 0x80                                       // 000000009CE8: B7500080
	s_cmp_lt_i32 s80, s81                                      // 000000009CEC: BF045150
	s_cbranch_scc0 label_2012                                  // 000000009CF0: BF840352
	s_waitcnt vmcnt(20) lgkmcnt(0)                             // 000000009CF4: BF8C4074
	v_mfma_f32_16x16x32_fp8_fp8 v[88:91], a[144:145], a[72:73], v[88:91]// 000000009CF8: D3F30058 1D629190
	buffer_load_dwordx4 a[160:163], v84, s[24:27], 0 offen     // 000000009D00: E05C1000 8086A054
	v_mfma_f32_16x16x32_fp8_fp8 v[88:91], a[146:147], a[74:75], v[88:91]// 000000009D08: D3F30058 1D629592
	v_mfma_f32_16x16x32_fp8_fp8 v[88:91], a[148:149], a[76:77], v[88:91]// 000000009D10: D3F30058 1D629994
	v_mfma_f32_16x16x32_fp8_fp8 v[88:91], a[150:151], a[78:79], v[88:91]// 000000009D18: D3F30058 1D629D96
	v_mfma_f32_16x16x32_fp8_fp8 v[92:95], a[144:145], a[80:81], v[92:95]// 000000009D20: D3F3005C 1D72A190
	buffer_load_dwordx4 a[164:167], v84, s[24:27], 0 offen offset:1024// 000000009D28: E05C1400 8086A454
	buffer_load_dword v66, s[20:23], 0 offen lds               // 000000009D30: E0511000 80050042
	s_add_u32 m0, 0x100, s50                                   // 000000009D38: 807C32FF 00000100
	v_mfma_f32_16x16x32_fp8_fp8 v[92:95], a[146:147], a[82:83], v[92:95]// 000000009D40: D3F3005C 1D72A592
	v_mfma_f32_16x16x32_fp8_fp8 v[92:95], a[148:149], a[84:85], v[92:95]// 000000009D48: D3F3005C 1D72A994
	buffer_load_dword v67, s[20:23], 0 offen lds               // 000000009D50: E0511000 80050043
	s_add_u32 m0, 0x200, s50                                   // 000000009D58: 807C32FF 00000200
	v_mfma_f32_16x16x32_fp8_fp8 v[92:95], a[150:151], a[86:87], v[92:95]// 000000009D60: D3F3005C 1D72AD96
	v_mfma_f32_16x16x32_fp8_fp8 v[96:99], a[144:145], a[88:89], v[96:99]// 000000009D68: D3F30060 1D82B190
	buffer_load_dword v68, s[20:23], 0 offen lds               // 000000009D70: E0511000 80050044
	s_add_u32 m0, 0x300, s50                                   // 000000009D78: 807C32FF 00000300
	v_mfma_f32_16x16x32_fp8_fp8 v[96:99], a[146:147], a[90:91], v[96:99]// 000000009D80: D3F30060 1D82B592
	v_mfma_f32_16x16x32_fp8_fp8 v[96:99], a[148:149], a[92:93], v[96:99]// 000000009D88: D3F30060 1D82B994
	buffer_load_dword v69, s[20:23], 0 offen lds               // 000000009D90: E0511000 80050045
	s_add_u32 m0, 0x400, s50                                   // 000000009D98: 807C32FF 00000400
	v_mfma_f32_16x16x32_fp8_fp8 v[96:99], a[150:151], a[94:95], v[96:99]// 000000009DA0: D3F30060 1D82BD96
	v_mfma_f32_16x16x32_fp8_fp8 v[100:103], a[144:145], a[96:97], v[100:103]// 000000009DA8: D3F30064 1D92C190
	buffer_load_dword v70, s[20:23], 0 offen lds               // 000000009DB0: E0511000 80050046
	s_add_u32 m0, 0x500, s50                                   // 000000009DB8: 807C32FF 00000500
	v_mfma_f32_16x16x32_fp8_fp8 v[100:103], a[146:147], a[98:99], v[100:103]// 000000009DC0: D3F30064 1D92C592
	v_mfma_f32_16x16x32_fp8_fp8 v[100:103], a[148:149], a[100:101], v[100:103]// 000000009DC8: D3F30064 1D92C994
	buffer_load_dword v71, s[20:23], 0 offen lds               // 000000009DD0: E0511000 80050047
	s_add_u32 m0, 0x600, s50                                   // 000000009DD8: 807C32FF 00000600
	v_mfma_f32_16x16x32_fp8_fp8 v[100:103], a[150:151], a[102:103], v[100:103]// 000000009DE0: D3F30064 1D92CD96
	v_mfma_f32_16x16x32_fp8_fp8 v[104:107], a[144:145], a[104:105], v[104:107]// 000000009DE8: D3F30068 1DA2D190
	buffer_load_dword v72, s[20:23], 0 offen lds               // 000000009DF0: E0511000 80050048
	s_add_u32 m0, 0x700, s50                                   // 000000009DF8: 807C32FF 00000700
	v_mfma_f32_16x16x32_fp8_fp8 v[104:107], a[146:147], a[106:107], v[104:107]// 000000009E00: D3F30068 1DA2D592
	v_mfma_f32_16x16x32_fp8_fp8 v[104:107], a[148:149], a[108:109], v[104:107]// 000000009E08: D3F30068 1DA2D994
	buffer_load_dword v73, s[20:23], 0 offen lds               // 000000009E10: E0511000 80050049
	s_add_u32 m0, 0x800, s50                                   // 000000009E18: 807C32FF 00000800
	v_mfma_f32_16x16x32_fp8_fp8 v[104:107], a[150:151], a[110:111], v[104:107]// 000000009E20: D3F30068 1DA2DD96
	v_mfma_f32_16x16x32_fp8_fp8 v[108:111], a[144:145], a[112:113], v[108:111]// 000000009E28: D3F3006C 1DB2E190
	buffer_load_dword v74, s[20:23], 0 offen lds               // 000000009E30: E0511000 8005004A
	s_add_u32 m0, 0x900, s50                                   // 000000009E38: 807C32FF 00000900
	v_mfma_f32_16x16x32_fp8_fp8 v[108:111], a[146:147], a[114:115], v[108:111]// 000000009E40: D3F3006C 1DB2E592
	v_mfma_f32_16x16x32_fp8_fp8 v[108:111], a[148:149], a[116:117], v[108:111]// 000000009E48: D3F3006C 1DB2E994
	buffer_load_dword v75, s[20:23], 0 offen lds               // 000000009E50: E0511000 8005004B
	s_add_u32 m0, 0xa00, s50                                   // 000000009E58: 807C32FF 00000A00
	v_mfma_f32_16x16x32_fp8_fp8 v[108:111], a[150:151], a[118:119], v[108:111]// 000000009E60: D3F3006C 1DB2ED96
	v_mfma_f32_16x16x32_fp8_fp8 v[112:115], a[144:145], a[120:121], v[112:115]// 000000009E68: D3F30070 1DC2F190
	buffer_load_dword v76, s[20:23], 0 offen lds               // 000000009E70: E0511000 8005004C
	s_add_u32 m0, 0xb00, s50                                   // 000000009E78: 807C32FF 00000B00
	v_mfma_f32_16x16x32_fp8_fp8 v[112:115], a[146:147], a[122:123], v[112:115]// 000000009E80: D3F30070 1DC2F592
	v_mfma_f32_16x16x32_fp8_fp8 v[112:115], a[148:149], a[124:125], v[112:115]// 000000009E88: D3F30070 1DC2F994
	buffer_load_dword v77, s[20:23], 0 offen lds               // 000000009E90: E0511000 8005004D
	s_add_u32 m0, 0xc00, s50                                   // 000000009E98: 807C32FF 00000C00
	v_mfma_f32_16x16x32_fp8_fp8 v[112:115], a[150:151], a[126:127], v[112:115]// 000000009EA0: D3F30070 1DC2FD96
	v_mfma_f32_16x16x32_fp8_fp8 v[116:119], a[144:145], a[128:129], v[116:119]// 000000009EA8: D3F30074 1DD30190
	buffer_load_dword v78, s[20:23], 0 offen lds               // 000000009EB0: E0511000 8005004E
	s_add_u32 m0, 0xd00, s50                                   // 000000009EB8: 807C32FF 00000D00
	v_mfma_f32_16x16x32_fp8_fp8 v[116:119], a[146:147], a[130:131], v[116:119]// 000000009EC0: D3F30074 1DD30592
	v_mfma_f32_16x16x32_fp8_fp8 v[116:119], a[148:149], a[132:133], v[116:119]// 000000009EC8: D3F30074 1DD30994
	buffer_load_dword v79, s[20:23], 0 offen lds               // 000000009ED0: E0511000 8005004F
	s_add_u32 m0, 0xe00, s50                                   // 000000009ED8: 807C32FF 00000E00
	v_mfma_f32_16x16x32_fp8_fp8 v[116:119], a[150:151], a[134:135], v[116:119]// 000000009EE0: D3F30074 1DD30D96
	v_mfma_f32_16x16x32_fp8_fp8 v[120:123], a[144:145], a[136:137], v[120:123]// 000000009EE8: D3F30078 1DE31190
	buffer_load_dword v80, s[20:23], 0 offen lds               // 000000009EF0: E0511000 80050050
	s_add_u32 m0, 0xf00, s50                                   // 000000009EF8: 807C32FF 00000F00
	v_mfma_f32_16x16x32_fp8_fp8 v[120:123], a[146:147], a[138:139], v[120:123]// 000000009F00: D3F30078 1DE31592
	v_mfma_f32_16x16x32_fp8_fp8 v[120:123], a[148:149], a[140:141], v[120:123]// 000000009F08: D3F30078 1DE31994
	buffer_load_dword v81, s[20:23], 0 offen lds               // 000000009F10: E0511000 80050051
	s_add_u32 m0, 0x1000, s50                                  // 000000009F18: 807C32FF 00001000
	v_mfma_f32_16x16x32_fp8_fp8 v[120:123], a[150:151], a[142:143], v[120:123]// 000000009F20: D3F30078 1DE31D96
	buffer_load_dword v82, s[20:23], 0 offen lds               // 000000009F28: E0511000 80050052
	s_add_u32 m0, 0x1100, s50                                  // 000000009F30: 807C32FF 00001100
	buffer_load_dword v83, s[20:23], 0 offen lds               // 000000009F38: E0511000 80050053
	s_add_u32 m0, 0, s48                                       // 000000009F40: 807C3080
	s_waitcnt vmcnt(20)                                        // 000000009F44: BF8C4F74
	s_barrier                                                  // 000000009F48: BF8A0000
	v_mfma_f32_16x16x32_fp8_fp8 v[124:127], a[152:153], a[72:73], v[124:127]// 000000009F4C: D3F3007C 1DF29198
	buffer_load_dwordx4 a[144:147], v84, s[84:87], 0 offen     // 000000009F54: E05C1000 80959054
	v_mfma_f32_16x16x32_fp8_fp8 v[124:127], a[154:155], a[74:75], v[124:127]// 000000009F5C: D3F3007C 1DF2959A
	v_mfma_f32_16x16x32_fp8_fp8 v[124:127], a[156:157], a[76:77], v[124:127]// 000000009F64: D3F3007C 1DF2999C
	ds_read_b128 a[0:3], v2 offset:18560                       // 000000009F6C: DBFE4880 00000002
	ds_read_b128 a[4:7], v2 offset:18624                       // 000000009F74: DBFE48C0 04000002
	v_mfma_f32_16x16x32_fp8_fp8 v[124:127], a[158:159], a[78:79], v[124:127]// 000000009F7C: D3F3007C 1DF29D9E
	v_mfma_f32_16x16x32_fp8_fp8 v[128:131], a[152:153], a[80:81], v[128:131]// 000000009F84: D3F30080 1E02A198
	buffer_load_dwordx4 a[148:151], v84, s[84:87], 0 offen offset:1024// 000000009F8C: E05C1400 80959454
	v_mfma_f32_16x16x32_fp8_fp8 v[128:131], a[154:155], a[82:83], v[128:131]// 000000009F94: D3F30080 1E02A59A
	v_mfma_f32_16x16x32_fp8_fp8 v[128:131], a[156:157], a[84:85], v[128:131]// 000000009F9C: D3F30080 1E02A99C
	ds_read_b128 a[8:11], v2 offset:19072                      // 000000009FA4: DBFE4A80 08000002
	ds_read_b128 a[12:15], v2 offset:19136                     // 000000009FAC: DBFE4AC0 0C000002
	v_mfma_f32_16x16x32_fp8_fp8 v[128:131], a[158:159], a[86:87], v[128:131]// 000000009FB4: D3F30080 1E02AD9E
	v_mfma_f32_16x16x32_fp8_fp8 v[132:135], a[152:153], a[88:89], v[132:135]// 000000009FBC: D3F30084 1E12B198
	v_mfma_f32_16x16x32_fp8_fp8 v[132:135], a[154:155], a[90:91], v[132:135]// 000000009FC4: D3F30084 1E12B59A
	v_mfma_f32_16x16x32_fp8_fp8 v[132:135], a[156:157], a[92:93], v[132:135]// 000000009FCC: D3F30084 1E12B99C
	ds_read_b128 a[16:19], v2 offset:19584                     // 000000009FD4: DBFE4C80 10000002
	ds_read_b128 a[20:23], v2 offset:19648                     // 000000009FDC: DBFE4CC0 14000002
	v_mfma_f32_16x16x32_fp8_fp8 v[132:135], a[158:159], a[94:95], v[132:135]// 000000009FE4: D3F30084 1E12BD9E
	v_mfma_f32_16x16x32_fp8_fp8 v[136:139], a[152:153], a[96:97], v[136:139]// 000000009FEC: D3F30088 1E22C198
	v_mfma_f32_16x16x32_fp8_fp8 v[136:139], a[154:155], a[98:99], v[136:139]// 000000009FF4: D3F30088 1E22C59A
	v_mfma_f32_16x16x32_fp8_fp8 v[136:139], a[156:157], a[100:101], v[136:139]// 000000009FFC: D3F30088 1E22C99C
	ds_read_b128 a[24:27], v2 offset:20096                     // 00000000A004: DBFE4E80 18000002
	ds_read_b128 a[28:31], v2 offset:20160                     // 00000000A00C: DBFE4EC0 1C000002
	v_mfma_f32_16x16x32_fp8_fp8 v[136:139], a[158:159], a[102:103], v[136:139]// 00000000A014: D3F30088 1E22CD9E
	v_mfma_f32_16x16x32_fp8_fp8 v[140:143], a[152:153], a[104:105], v[140:143]// 00000000A01C: D3F3008C 1E32D198
	v_mfma_f32_16x16x32_fp8_fp8 v[140:143], a[154:155], a[106:107], v[140:143]// 00000000A024: D3F3008C 1E32D59A
	v_mfma_f32_16x16x32_fp8_fp8 v[140:143], a[156:157], a[108:109], v[140:143]// 00000000A02C: D3F3008C 1E32D99C
	ds_read_b128 a[32:35], v2 offset:20608                     // 00000000A034: DBFE5080 20000002
	ds_read_b128 a[36:39], v2 offset:20672                     // 00000000A03C: DBFE50C0 24000002
	v_mfma_f32_16x16x32_fp8_fp8 v[140:143], a[158:159], a[110:111], v[140:143]// 00000000A044: D3F3008C 1E32DD9E
	v_mfma_f32_16x16x32_fp8_fp8 v[144:147], a[152:153], a[112:113], v[144:147]// 00000000A04C: D3F30090 1E42E198
	v_mfma_f32_16x16x32_fp8_fp8 v[144:147], a[154:155], a[114:115], v[144:147]// 00000000A054: D3F30090 1E42E59A
	v_mfma_f32_16x16x32_fp8_fp8 v[144:147], a[156:157], a[116:117], v[144:147]// 00000000A05C: D3F30090 1E42E99C
	ds_read_b128 a[40:43], v2 offset:21120                     // 00000000A064: DBFE5280 28000002
	ds_read_b128 a[44:47], v2 offset:21184                     // 00000000A06C: DBFE52C0 2C000002
	v_mfma_f32_16x16x32_fp8_fp8 v[144:147], a[158:159], a[118:119], v[144:147]// 00000000A074: D3F30090 1E42ED9E
	v_mfma_f32_16x16x32_fp8_fp8 v[148:151], a[152:153], a[120:121], v[148:151]// 00000000A07C: D3F30094 1E52F198
	v_mfma_f32_16x16x32_fp8_fp8 v[148:151], a[154:155], a[122:123], v[148:151]// 00000000A084: D3F30094 1E52F59A
	v_mfma_f32_16x16x32_fp8_fp8 v[148:151], a[156:157], a[124:125], v[148:151]// 00000000A08C: D3F30094 1E52F99C
	ds_read_b128 a[48:51], v2 offset:21632                     // 00000000A094: DBFE5480 30000002
	ds_read_b128 a[52:55], v2 offset:21696                     // 00000000A09C: DBFE54C0 34000002
	v_mfma_f32_16x16x32_fp8_fp8 v[148:151], a[158:159], a[126:127], v[148:151]// 00000000A0A4: D3F30094 1E52FD9E
	v_mfma_f32_16x16x32_fp8_fp8 v[152:155], a[152:153], a[128:129], v[152:155]// 00000000A0AC: D3F30098 1E630198
	s_add_u32 s60, 0x180, s80                                  // 00000000A0B4: 803C50FF 00000180
	s_cmp_lt_u32 s60, s81                                      // 00000000A0BC: BF0A513C
	s_cselect_b32 s57, s57, 0                                  // 00000000A0C0: 85398039
	v_mfma_f32_16x16x32_fp8_fp8 v[152:155], a[154:155], a[130:131], v[152:155]// 00000000A0C4: D3F30098 1E63059A
	s_add_u32 s60, 0x100, s80                                  // 00000000A0CC: 803C50FF 00000100
	s_cmp_lt_u32 s60, s81                                      // 00000000A0D4: BF0A513C
	s_cselect_b32 s58, s58, 0                                  // 00000000A0D8: 853A803A
	v_mfma_f32_16x16x32_fp8_fp8 v[152:155], a[156:157], a[132:133], v[152:155]// 00000000A0DC: D3F30098 1E63099C
	ds_read_b128 a[56:59], v2 offset:22144                     // 00000000A0E4: DBFE5680 38000002
	ds_read_b128 a[60:63], v2 offset:22208                     // 00000000A0EC: DBFE56C0 3C000002
	s_add_u32 s60, 0x100, s80                                  // 00000000A0F4: 803C50FF 00000100
	s_cmp_lt_u32 s60, s81                                      // 00000000A0FC: BF0A513C
	s_cselect_b32 s83, s83, 0                                  // 00000000A100: 85538053
	v_mfma_f32_16x16x32_fp8_fp8 v[152:155], a[158:159], a[134:135], v[152:155]// 00000000A104: D3F30098 1E630D9E
	s_add_u32 s24, s58, s24                                    // 00000000A10C: 8018183A
	s_addc_u32 s25, 0, s25                                     // 00000000A110: 82191980
	v_mfma_f32_16x16x32_fp8_fp8 v[156:159], a[152:153], a[136:137], v[156:159]// 00000000A114: D3F3009C 1E731198
	s_add_u32 s20, s57, s20                                    // 00000000A11C: 80141439
	s_addc_u32 s21, 0, s21                                     // 00000000A120: 82151580
	v_mfma_f32_16x16x32_fp8_fp8 v[156:159], a[154:155], a[138:139], v[156:159]// 00000000A124: D3F3009C 1E73159A
	s_add_u32 s84, s83, s84                                    // 00000000A12C: 80545453
	s_addc_u32 s85, 0, s85                                     // 00000000A130: 82555580
	v_mfma_f32_16x16x32_fp8_fp8 v[156:159], a[156:157], a[140:141], v[156:159]// 00000000A134: D3F3009C 1E73199C
	ds_read_b128 a[64:67], v2 offset:22656                     // 00000000A13C: DBFE5880 40000002
	ds_read_b128 a[68:71], v2 offset:22720                     // 00000000A144: DBFE58C0 44000002
	v_mfma_f32_16x16x32_fp8_fp8 v[156:159], a[158:159], a[142:143], v[156:159]// 00000000A14C: D3F3009C 1E731D9E
	s_addk_i32 s80, 0x80                                       // 00000000A154: B7500080
	s_cmp_lt_i32 s80, s81                                      // 00000000A158: BF045150
	s_cbranch_scc0 label_2012                                  // 00000000A15C: BF840237
	s_waitcnt vmcnt(20) lgkmcnt(0)                             // 00000000A160: BF8C4074
	v_mfma_f32_16x16x32_fp8_fp8 v[88:91], a[160:161], a[0:1], v[88:91]// 00000000A164: D3F30058 1D6201A0
	buffer_load_dwordx4 a[152:155], v84, s[24:27], 0 offen     // 00000000A16C: E05C1000 80869854
	v_mfma_f32_16x16x32_fp8_fp8 v[88:91], a[162:163], a[2:3], v[88:91]// 00000000A174: D3F30058 1D6205A2
	v_mfma_f32_16x16x32_fp8_fp8 v[88:91], a[164:165], a[4:5], v[88:91]// 00000000A17C: D3F30058 1D6209A4
	v_mfma_f32_16x16x32_fp8_fp8 v[88:91], a[166:167], a[6:7], v[88:91]// 00000000A184: D3F30058 1D620DA6
	v_mfma_f32_16x16x32_fp8_fp8 v[92:95], a[160:161], a[8:9], v[92:95]// 00000000A18C: D3F3005C 1D7211A0
	buffer_load_dwordx4 a[156:159], v84, s[24:27], 0 offen offset:1024// 00000000A194: E05C1400 80869C54
	buffer_load_dword v66, s[20:23], 0 offen lds               // 00000000A19C: E0511000 80050042
	s_add_u32 m0, 0x100, s48                                   // 00000000A1A4: 807C30FF 00000100
	v_mfma_f32_16x16x32_fp8_fp8 v[92:95], a[162:163], a[10:11], v[92:95]// 00000000A1AC: D3F3005C 1D7215A2
	v_mfma_f32_16x16x32_fp8_fp8 v[92:95], a[164:165], a[12:13], v[92:95]// 00000000A1B4: D3F3005C 1D7219A4
	buffer_load_dword v67, s[20:23], 0 offen lds               // 00000000A1BC: E0511000 80050043
	s_add_u32 m0, 0x200, s48                                   // 00000000A1C4: 807C30FF 00000200
	v_mfma_f32_16x16x32_fp8_fp8 v[92:95], a[166:167], a[14:15], v[92:95]// 00000000A1CC: D3F3005C 1D721DA6
	v_mfma_f32_16x16x32_fp8_fp8 v[96:99], a[160:161], a[16:17], v[96:99]// 00000000A1D4: D3F30060 1D8221A0
	buffer_load_dword v68, s[20:23], 0 offen lds               // 00000000A1DC: E0511000 80050044
	s_add_u32 m0, 0x300, s48                                   // 00000000A1E4: 807C30FF 00000300
	v_mfma_f32_16x16x32_fp8_fp8 v[96:99], a[162:163], a[18:19], v[96:99]// 00000000A1EC: D3F30060 1D8225A2
	v_mfma_f32_16x16x32_fp8_fp8 v[96:99], a[164:165], a[20:21], v[96:99]// 00000000A1F4: D3F30060 1D8229A4
	buffer_load_dword v69, s[20:23], 0 offen lds               // 00000000A1FC: E0511000 80050045
	s_add_u32 m0, 0x400, s48                                   // 00000000A204: 807C30FF 00000400
	v_mfma_f32_16x16x32_fp8_fp8 v[96:99], a[166:167], a[22:23], v[96:99]// 00000000A20C: D3F30060 1D822DA6
	v_mfma_f32_16x16x32_fp8_fp8 v[100:103], a[160:161], a[24:25], v[100:103]// 00000000A214: D3F30064 1D9231A0
	buffer_load_dword v70, s[20:23], 0 offen lds               // 00000000A21C: E0511000 80050046
	s_add_u32 m0, 0x500, s48                                   // 00000000A224: 807C30FF 00000500
	v_mfma_f32_16x16x32_fp8_fp8 v[100:103], a[162:163], a[26:27], v[100:103]// 00000000A22C: D3F30064 1D9235A2
	v_mfma_f32_16x16x32_fp8_fp8 v[100:103], a[164:165], a[28:29], v[100:103]// 00000000A234: D3F30064 1D9239A4
	buffer_load_dword v71, s[20:23], 0 offen lds               // 00000000A23C: E0511000 80050047
	s_add_u32 m0, 0x600, s48                                   // 00000000A244: 807C30FF 00000600
	v_mfma_f32_16x16x32_fp8_fp8 v[100:103], a[166:167], a[30:31], v[100:103]// 00000000A24C: D3F30064 1D923DA6
	v_mfma_f32_16x16x32_fp8_fp8 v[104:107], a[160:161], a[32:33], v[104:107]// 00000000A254: D3F30068 1DA241A0
	buffer_load_dword v72, s[20:23], 0 offen lds               // 00000000A25C: E0511000 80050048
	s_add_u32 m0, 0x700, s48                                   // 00000000A264: 807C30FF 00000700
	v_mfma_f32_16x16x32_fp8_fp8 v[104:107], a[162:163], a[34:35], v[104:107]// 00000000A26C: D3F30068 1DA245A2
	v_mfma_f32_16x16x32_fp8_fp8 v[104:107], a[164:165], a[36:37], v[104:107]// 00000000A274: D3F30068 1DA249A4
	buffer_load_dword v73, s[20:23], 0 offen lds               // 00000000A27C: E0511000 80050049
	s_add_u32 m0, 0x800, s48                                   // 00000000A284: 807C30FF 00000800
	v_mfma_f32_16x16x32_fp8_fp8 v[104:107], a[166:167], a[38:39], v[104:107]// 00000000A28C: D3F30068 1DA24DA6
	v_mfma_f32_16x16x32_fp8_fp8 v[108:111], a[160:161], a[40:41], v[108:111]// 00000000A294: D3F3006C 1DB251A0
	buffer_load_dword v74, s[20:23], 0 offen lds               // 00000000A29C: E0511000 8005004A
	s_add_u32 m0, 0x900, s48                                   // 00000000A2A4: 807C30FF 00000900
	v_mfma_f32_16x16x32_fp8_fp8 v[108:111], a[162:163], a[42:43], v[108:111]// 00000000A2AC: D3F3006C 1DB255A2
	v_mfma_f32_16x16x32_fp8_fp8 v[108:111], a[164:165], a[44:45], v[108:111]// 00000000A2B4: D3F3006C 1DB259A4
	buffer_load_dword v75, s[20:23], 0 offen lds               // 00000000A2BC: E0511000 8005004B
	s_add_u32 m0, 0xa00, s48                                   // 00000000A2C4: 807C30FF 00000A00
	v_mfma_f32_16x16x32_fp8_fp8 v[108:111], a[166:167], a[46:47], v[108:111]// 00000000A2CC: D3F3006C 1DB25DA6
	v_mfma_f32_16x16x32_fp8_fp8 v[112:115], a[160:161], a[48:49], v[112:115]// 00000000A2D4: D3F30070 1DC261A0
	buffer_load_dword v76, s[20:23], 0 offen lds               // 00000000A2DC: E0511000 8005004C
	s_add_u32 m0, 0xb00, s48                                   // 00000000A2E4: 807C30FF 00000B00
	v_mfma_f32_16x16x32_fp8_fp8 v[112:115], a[162:163], a[50:51], v[112:115]// 00000000A2EC: D3F30070 1DC265A2
	v_mfma_f32_16x16x32_fp8_fp8 v[112:115], a[164:165], a[52:53], v[112:115]// 00000000A2F4: D3F30070 1DC269A4
	buffer_load_dword v77, s[20:23], 0 offen lds               // 00000000A2FC: E0511000 8005004D
	s_add_u32 m0, 0xc00, s48                                   // 00000000A304: 807C30FF 00000C00
	v_mfma_f32_16x16x32_fp8_fp8 v[112:115], a[166:167], a[54:55], v[112:115]// 00000000A30C: D3F30070 1DC26DA6
	v_mfma_f32_16x16x32_fp8_fp8 v[116:119], a[160:161], a[56:57], v[116:119]// 00000000A314: D3F30074 1DD271A0
	buffer_load_dword v78, s[20:23], 0 offen lds               // 00000000A31C: E0511000 8005004E
	s_add_u32 m0, 0xd00, s48                                   // 00000000A324: 807C30FF 00000D00
	v_mfma_f32_16x16x32_fp8_fp8 v[116:119], a[162:163], a[58:59], v[116:119]// 00000000A32C: D3F30074 1DD275A2
	v_mfma_f32_16x16x32_fp8_fp8 v[116:119], a[164:165], a[60:61], v[116:119]// 00000000A334: D3F30074 1DD279A4
	buffer_load_dword v79, s[20:23], 0 offen lds               // 00000000A33C: E0511000 8005004F
	s_add_u32 m0, 0xe00, s48                                   // 00000000A344: 807C30FF 00000E00
	v_mfma_f32_16x16x32_fp8_fp8 v[116:119], a[166:167], a[62:63], v[116:119]// 00000000A34C: D3F30074 1DD27DA6
	v_mfma_f32_16x16x32_fp8_fp8 v[120:123], a[160:161], a[64:65], v[120:123]// 00000000A354: D3F30078 1DE281A0
	buffer_load_dword v80, s[20:23], 0 offen lds               // 00000000A35C: E0511000 80050050
	s_add_u32 m0, 0xf00, s48                                   // 00000000A364: 807C30FF 00000F00
	v_mfma_f32_16x16x32_fp8_fp8 v[120:123], a[162:163], a[66:67], v[120:123]// 00000000A36C: D3F30078 1DE285A2
	v_mfma_f32_16x16x32_fp8_fp8 v[120:123], a[164:165], a[68:69], v[120:123]// 00000000A374: D3F30078 1DE289A4
	buffer_load_dword v81, s[20:23], 0 offen lds               // 00000000A37C: E0511000 80050051
	s_add_u32 m0, 0x1000, s48                                  // 00000000A384: 807C30FF 00001000
	v_mfma_f32_16x16x32_fp8_fp8 v[120:123], a[166:167], a[70:71], v[120:123]// 00000000A38C: D3F30078 1DE28DA6
	buffer_load_dword v82, s[20:23], 0 offen lds               // 00000000A394: E0511000 80050052
	s_add_u32 m0, 0x1100, s48                                  // 00000000A39C: 807C30FF 00001100
	buffer_load_dword v83, s[20:23], 0 offen lds               // 00000000A3A4: E0511000 80050053
	s_add_u32 m0, 0, s49                                       // 00000000A3AC: 807C3180
	s_waitcnt vmcnt(20)                                        // 00000000A3B0: BF8C4F74
	s_barrier                                                  // 00000000A3B4: BF8A0000
	v_mfma_f32_16x16x32_fp8_fp8 v[124:127], a[144:145], a[0:1], v[124:127]// 00000000A3B8: D3F3007C 1DF20190
	buffer_load_dwordx4 a[160:163], v84, s[84:87], 0 offen     // 00000000A3C0: E05C1000 8095A054
	v_mfma_f32_16x16x32_fp8_fp8 v[124:127], a[146:147], a[2:3], v[124:127]// 00000000A3C8: D3F3007C 1DF20592
	v_mfma_f32_16x16x32_fp8_fp8 v[124:127], a[148:149], a[4:5], v[124:127]// 00000000A3D0: D3F3007C 1DF20994
	ds_read_b128 a[72:75], v2 offset:37120                     // 00000000A3D8: DBFE9100 48000002
	ds_read_b128 a[76:79], v2 offset:37184                     // 00000000A3E0: DBFE9140 4C000002
	v_mfma_f32_16x16x32_fp8_fp8 v[124:127], a[150:151], a[6:7], v[124:127]// 00000000A3E8: D3F3007C 1DF20D96
	v_mfma_f32_16x16x32_fp8_fp8 v[128:131], a[144:145], a[8:9], v[128:131]// 00000000A3F0: D3F30080 1E021190
	buffer_load_dwordx4 a[164:167], v84, s[84:87], 0 offen offset:1024// 00000000A3F8: E05C1400 8095A454
	v_mfma_f32_16x16x32_fp8_fp8 v[128:131], a[146:147], a[10:11], v[128:131]// 00000000A400: D3F30080 1E021592
	v_mfma_f32_16x16x32_fp8_fp8 v[128:131], a[148:149], a[12:13], v[128:131]// 00000000A408: D3F30080 1E021994
	ds_read_b128 a[80:83], v2 offset:37632                     // 00000000A410: DBFE9300 50000002
	ds_read_b128 a[84:87], v2 offset:37696                     // 00000000A418: DBFE9340 54000002
	v_mfma_f32_16x16x32_fp8_fp8 v[128:131], a[150:151], a[14:15], v[128:131]// 00000000A420: D3F30080 1E021D96
	v_mfma_f32_16x16x32_fp8_fp8 v[132:135], a[144:145], a[16:17], v[132:135]// 00000000A428: D3F30084 1E122190
	v_mfma_f32_16x16x32_fp8_fp8 v[132:135], a[146:147], a[18:19], v[132:135]// 00000000A430: D3F30084 1E122592
	v_mfma_f32_16x16x32_fp8_fp8 v[132:135], a[148:149], a[20:21], v[132:135]// 00000000A438: D3F30084 1E122994
	ds_read_b128 a[88:91], v2 offset:38144                     // 00000000A440: DBFE9500 58000002
	ds_read_b128 a[92:95], v2 offset:38208                     // 00000000A448: DBFE9540 5C000002
	v_mfma_f32_16x16x32_fp8_fp8 v[132:135], a[150:151], a[22:23], v[132:135]// 00000000A450: D3F30084 1E122D96
	v_mfma_f32_16x16x32_fp8_fp8 v[136:139], a[144:145], a[24:25], v[136:139]// 00000000A458: D3F30088 1E223190
	v_mfma_f32_16x16x32_fp8_fp8 v[136:139], a[146:147], a[26:27], v[136:139]// 00000000A460: D3F30088 1E223592
	v_mfma_f32_16x16x32_fp8_fp8 v[136:139], a[148:149], a[28:29], v[136:139]// 00000000A468: D3F30088 1E223994
	ds_read_b128 a[96:99], v2 offset:38656                     // 00000000A470: DBFE9700 60000002
	ds_read_b128 a[100:103], v2 offset:38720                   // 00000000A478: DBFE9740 64000002
	v_mfma_f32_16x16x32_fp8_fp8 v[136:139], a[150:151], a[30:31], v[136:139]// 00000000A480: D3F30088 1E223D96
	v_mfma_f32_16x16x32_fp8_fp8 v[140:143], a[144:145], a[32:33], v[140:143]// 00000000A488: D3F3008C 1E324190
	v_mfma_f32_16x16x32_fp8_fp8 v[140:143], a[146:147], a[34:35], v[140:143]// 00000000A490: D3F3008C 1E324592
	v_mfma_f32_16x16x32_fp8_fp8 v[140:143], a[148:149], a[36:37], v[140:143]// 00000000A498: D3F3008C 1E324994
	ds_read_b128 a[104:107], v2 offset:39168                   // 00000000A4A0: DBFE9900 68000002
	ds_read_b128 a[108:111], v2 offset:39232                   // 00000000A4A8: DBFE9940 6C000002
	v_mfma_f32_16x16x32_fp8_fp8 v[140:143], a[150:151], a[38:39], v[140:143]// 00000000A4B0: D3F3008C 1E324D96
	v_mfma_f32_16x16x32_fp8_fp8 v[144:147], a[144:145], a[40:41], v[144:147]// 00000000A4B8: D3F30090 1E425190
	v_mfma_f32_16x16x32_fp8_fp8 v[144:147], a[146:147], a[42:43], v[144:147]// 00000000A4C0: D3F30090 1E425592
	v_mfma_f32_16x16x32_fp8_fp8 v[144:147], a[148:149], a[44:45], v[144:147]// 00000000A4C8: D3F30090 1E425994
	ds_read_b128 a[112:115], v2 offset:39680                   // 00000000A4D0: DBFE9B00 70000002
	ds_read_b128 a[116:119], v2 offset:39744                   // 00000000A4D8: DBFE9B40 74000002
	v_mfma_f32_16x16x32_fp8_fp8 v[144:147], a[150:151], a[46:47], v[144:147]// 00000000A4E0: D3F30090 1E425D96
	v_mfma_f32_16x16x32_fp8_fp8 v[148:151], a[144:145], a[48:49], v[148:151]// 00000000A4E8: D3F30094 1E526190
	v_mfma_f32_16x16x32_fp8_fp8 v[148:151], a[146:147], a[50:51], v[148:151]// 00000000A4F0: D3F30094 1E526592
	v_mfma_f32_16x16x32_fp8_fp8 v[148:151], a[148:149], a[52:53], v[148:151]// 00000000A4F8: D3F30094 1E526994
	ds_read_b128 a[120:123], v2 offset:40192                   // 00000000A500: DBFE9D00 78000002
	ds_read_b128 a[124:127], v2 offset:40256                   // 00000000A508: DBFE9D40 7C000002
	v_mfma_f32_16x16x32_fp8_fp8 v[148:151], a[150:151], a[54:55], v[148:151]// 00000000A510: D3F30094 1E526D96
	v_mfma_f32_16x16x32_fp8_fp8 v[152:155], a[144:145], a[56:57], v[152:155]// 00000000A518: D3F30098 1E627190
	s_add_u32 s60, 0x180, s80                                  // 00000000A520: 803C50FF 00000180
	s_cmp_lt_u32 s60, s81                                      // 00000000A528: BF0A513C
	s_cselect_b32 s57, s57, 0                                  // 00000000A52C: 85398039
	v_mfma_f32_16x16x32_fp8_fp8 v[152:155], a[146:147], a[58:59], v[152:155]// 00000000A530: D3F30098 1E627592
	s_add_u32 s60, 0x100, s80                                  // 00000000A538: 803C50FF 00000100
	s_cmp_lt_u32 s60, s81                                      // 00000000A540: BF0A513C
	s_cselect_b32 s58, s58, 0                                  // 00000000A544: 853A803A
	v_mfma_f32_16x16x32_fp8_fp8 v[152:155], a[148:149], a[60:61], v[152:155]// 00000000A548: D3F30098 1E627994
	ds_read_b128 a[128:131], v2 offset:40704                   // 00000000A550: DBFE9F00 80000002
	ds_read_b128 a[132:135], v2 offset:40768                   // 00000000A558: DBFE9F40 84000002
	s_add_u32 s60, 0x100, s80                                  // 00000000A560: 803C50FF 00000100
	s_cmp_lt_u32 s60, s81                                      // 00000000A568: BF0A513C
	s_cselect_b32 s83, s83, 0                                  // 00000000A56C: 85538053
	v_mfma_f32_16x16x32_fp8_fp8 v[152:155], a[150:151], a[62:63], v[152:155]// 00000000A570: D3F30098 1E627D96
	s_add_u32 s24, s58, s24                                    // 00000000A578: 8018183A
	s_addc_u32 s25, 0, s25                                     // 00000000A57C: 82191980
	v_mfma_f32_16x16x32_fp8_fp8 v[156:159], a[144:145], a[64:65], v[156:159]// 00000000A580: D3F3009C 1E728190
	s_add_u32 s20, s57, s20                                    // 00000000A588: 80141439
	s_addc_u32 s21, 0, s21                                     // 00000000A58C: 82151580
	v_mfma_f32_16x16x32_fp8_fp8 v[156:159], a[146:147], a[66:67], v[156:159]// 00000000A590: D3F3009C 1E728592
	s_add_u32 s84, s83, s84                                    // 00000000A598: 80545453
	s_addc_u32 s85, 0, s85                                     // 00000000A59C: 82555580
	v_mfma_f32_16x16x32_fp8_fp8 v[156:159], a[148:149], a[68:69], v[156:159]// 00000000A5A0: D3F3009C 1E728994
	ds_read_b128 a[136:139], v2 offset:41216                   // 00000000A5A8: DBFEA100 88000002
	ds_read_b128 a[140:143], v2 offset:41280                   // 00000000A5B0: DBFEA140 8C000002
	v_mfma_f32_16x16x32_fp8_fp8 v[156:159], a[150:151], a[70:71], v[156:159]// 00000000A5B8: D3F3009C 1E728D96
	s_addk_i32 s80, 0x80                                       // 00000000A5C0: B7500080
	s_cmp_lt_i32 s80, s81                                      // 00000000A5C4: BF045150
	s_cbranch_scc0 label_2012                                  // 00000000A5C8: BF84011C
	s_waitcnt vmcnt(20) lgkmcnt(0)                             // 00000000A5CC: BF8C4074
	v_mfma_f32_16x16x32_fp8_fp8 v[88:91], a[152:153], a[72:73], v[88:91]// 00000000A5D0: D3F30058 1D629198
	buffer_load_dwordx4 a[144:147], v84, s[24:27], 0 offen     // 00000000A5D8: E05C1000 80869054
	v_mfma_f32_16x16x32_fp8_fp8 v[88:91], a[154:155], a[74:75], v[88:91]// 00000000A5E0: D3F30058 1D62959A
	v_mfma_f32_16x16x32_fp8_fp8 v[88:91], a[156:157], a[76:77], v[88:91]// 00000000A5E8: D3F30058 1D62999C
	v_mfma_f32_16x16x32_fp8_fp8 v[88:91], a[158:159], a[78:79], v[88:91]// 00000000A5F0: D3F30058 1D629D9E
	v_mfma_f32_16x16x32_fp8_fp8 v[92:95], a[152:153], a[80:81], v[92:95]// 00000000A5F8: D3F3005C 1D72A198
	buffer_load_dwordx4 a[148:151], v84, s[24:27], 0 offen offset:1024// 00000000A600: E05C1400 80869454
	buffer_load_dword v66, s[20:23], 0 offen lds               // 00000000A608: E0511000 80050042
	s_add_u32 m0, 0x100, s49                                   // 00000000A610: 807C31FF 00000100
	v_mfma_f32_16x16x32_fp8_fp8 v[92:95], a[154:155], a[82:83], v[92:95]// 00000000A618: D3F3005C 1D72A59A
	v_mfma_f32_16x16x32_fp8_fp8 v[92:95], a[156:157], a[84:85], v[92:95]// 00000000A620: D3F3005C 1D72A99C
	buffer_load_dword v67, s[20:23], 0 offen lds               // 00000000A628: E0511000 80050043
	s_add_u32 m0, 0x200, s49                                   // 00000000A630: 807C31FF 00000200
	v_mfma_f32_16x16x32_fp8_fp8 v[92:95], a[158:159], a[86:87], v[92:95]// 00000000A638: D3F3005C 1D72AD9E
	v_mfma_f32_16x16x32_fp8_fp8 v[96:99], a[152:153], a[88:89], v[96:99]// 00000000A640: D3F30060 1D82B198
	buffer_load_dword v68, s[20:23], 0 offen lds               // 00000000A648: E0511000 80050044
	s_add_u32 m0, 0x300, s49                                   // 00000000A650: 807C31FF 00000300
	v_mfma_f32_16x16x32_fp8_fp8 v[96:99], a[154:155], a[90:91], v[96:99]// 00000000A658: D3F30060 1D82B59A
	v_mfma_f32_16x16x32_fp8_fp8 v[96:99], a[156:157], a[92:93], v[96:99]// 00000000A660: D3F30060 1D82B99C
	buffer_load_dword v69, s[20:23], 0 offen lds               // 00000000A668: E0511000 80050045
	s_add_u32 m0, 0x400, s49                                   // 00000000A670: 807C31FF 00000400
	v_mfma_f32_16x16x32_fp8_fp8 v[96:99], a[158:159], a[94:95], v[96:99]// 00000000A678: D3F30060 1D82BD9E
	v_mfma_f32_16x16x32_fp8_fp8 v[100:103], a[152:153], a[96:97], v[100:103]// 00000000A680: D3F30064 1D92C198
	buffer_load_dword v70, s[20:23], 0 offen lds               // 00000000A688: E0511000 80050046
	s_add_u32 m0, 0x500, s49                                   // 00000000A690: 807C31FF 00000500
	v_mfma_f32_16x16x32_fp8_fp8 v[100:103], a[154:155], a[98:99], v[100:103]// 00000000A698: D3F30064 1D92C59A
	v_mfma_f32_16x16x32_fp8_fp8 v[100:103], a[156:157], a[100:101], v[100:103]// 00000000A6A0: D3F30064 1D92C99C
	buffer_load_dword v71, s[20:23], 0 offen lds               // 00000000A6A8: E0511000 80050047
	s_add_u32 m0, 0x600, s49                                   // 00000000A6B0: 807C31FF 00000600
	v_mfma_f32_16x16x32_fp8_fp8 v[100:103], a[158:159], a[102:103], v[100:103]// 00000000A6B8: D3F30064 1D92CD9E
	v_mfma_f32_16x16x32_fp8_fp8 v[104:107], a[152:153], a[104:105], v[104:107]// 00000000A6C0: D3F30068 1DA2D198
	buffer_load_dword v72, s[20:23], 0 offen lds               // 00000000A6C8: E0511000 80050048
	s_add_u32 m0, 0x700, s49                                   // 00000000A6D0: 807C31FF 00000700
	v_mfma_f32_16x16x32_fp8_fp8 v[104:107], a[154:155], a[106:107], v[104:107]// 00000000A6D8: D3F30068 1DA2D59A
	v_mfma_f32_16x16x32_fp8_fp8 v[104:107], a[156:157], a[108:109], v[104:107]// 00000000A6E0: D3F30068 1DA2D99C
	buffer_load_dword v73, s[20:23], 0 offen lds               // 00000000A6E8: E0511000 80050049
	s_add_u32 m0, 0x800, s49                                   // 00000000A6F0: 807C31FF 00000800
	v_mfma_f32_16x16x32_fp8_fp8 v[104:107], a[158:159], a[110:111], v[104:107]// 00000000A6F8: D3F30068 1DA2DD9E
	v_mfma_f32_16x16x32_fp8_fp8 v[108:111], a[152:153], a[112:113], v[108:111]// 00000000A700: D3F3006C 1DB2E198
	buffer_load_dword v74, s[20:23], 0 offen lds               // 00000000A708: E0511000 8005004A
	s_add_u32 m0, 0x900, s49                                   // 00000000A710: 807C31FF 00000900
	v_mfma_f32_16x16x32_fp8_fp8 v[108:111], a[154:155], a[114:115], v[108:111]// 00000000A718: D3F3006C 1DB2E59A
	v_mfma_f32_16x16x32_fp8_fp8 v[108:111], a[156:157], a[116:117], v[108:111]// 00000000A720: D3F3006C 1DB2E99C
	buffer_load_dword v75, s[20:23], 0 offen lds               // 00000000A728: E0511000 8005004B
	s_add_u32 m0, 0xa00, s49                                   // 00000000A730: 807C31FF 00000A00
	v_mfma_f32_16x16x32_fp8_fp8 v[108:111], a[158:159], a[118:119], v[108:111]// 00000000A738: D3F3006C 1DB2ED9E
	v_mfma_f32_16x16x32_fp8_fp8 v[112:115], a[152:153], a[120:121], v[112:115]// 00000000A740: D3F30070 1DC2F198
	buffer_load_dword v76, s[20:23], 0 offen lds               // 00000000A748: E0511000 8005004C
	s_add_u32 m0, 0xb00, s49                                   // 00000000A750: 807C31FF 00000B00
	v_mfma_f32_16x16x32_fp8_fp8 v[112:115], a[154:155], a[122:123], v[112:115]// 00000000A758: D3F30070 1DC2F59A
	v_mfma_f32_16x16x32_fp8_fp8 v[112:115], a[156:157], a[124:125], v[112:115]// 00000000A760: D3F30070 1DC2F99C
	buffer_load_dword v77, s[20:23], 0 offen lds               // 00000000A768: E0511000 8005004D
	s_add_u32 m0, 0xc00, s49                                   // 00000000A770: 807C31FF 00000C00
	v_mfma_f32_16x16x32_fp8_fp8 v[112:115], a[158:159], a[126:127], v[112:115]// 00000000A778: D3F30070 1DC2FD9E
	v_mfma_f32_16x16x32_fp8_fp8 v[116:119], a[152:153], a[128:129], v[116:119]// 00000000A780: D3F30074 1DD30198
	buffer_load_dword v78, s[20:23], 0 offen lds               // 00000000A788: E0511000 8005004E
	s_add_u32 m0, 0xd00, s49                                   // 00000000A790: 807C31FF 00000D00
	v_mfma_f32_16x16x32_fp8_fp8 v[116:119], a[154:155], a[130:131], v[116:119]// 00000000A798: D3F30074 1DD3059A
	v_mfma_f32_16x16x32_fp8_fp8 v[116:119], a[156:157], a[132:133], v[116:119]// 00000000A7A0: D3F30074 1DD3099C
	buffer_load_dword v79, s[20:23], 0 offen lds               // 00000000A7A8: E0511000 8005004F
	s_add_u32 m0, 0xe00, s49                                   // 00000000A7B0: 807C31FF 00000E00
	v_mfma_f32_16x16x32_fp8_fp8 v[116:119], a[158:159], a[134:135], v[116:119]// 00000000A7B8: D3F30074 1DD30D9E
	v_mfma_f32_16x16x32_fp8_fp8 v[120:123], a[152:153], a[136:137], v[120:123]// 00000000A7C0: D3F30078 1DE31198
	buffer_load_dword v80, s[20:23], 0 offen lds               // 00000000A7C8: E0511000 80050050
	s_add_u32 m0, 0xf00, s49                                   // 00000000A7D0: 807C31FF 00000F00
	v_mfma_f32_16x16x32_fp8_fp8 v[120:123], a[154:155], a[138:139], v[120:123]// 00000000A7D8: D3F30078 1DE3159A
	v_mfma_f32_16x16x32_fp8_fp8 v[120:123], a[156:157], a[140:141], v[120:123]// 00000000A7E0: D3F30078 1DE3199C
	buffer_load_dword v81, s[20:23], 0 offen lds               // 00000000A7E8: E0511000 80050051
	s_add_u32 m0, 0x1000, s49                                  // 00000000A7F0: 807C31FF 00001000
	v_mfma_f32_16x16x32_fp8_fp8 v[120:123], a[158:159], a[142:143], v[120:123]// 00000000A7F8: D3F30078 1DE31D9E
	buffer_load_dword v82, s[20:23], 0 offen lds               // 00000000A800: E0511000 80050052
	s_add_u32 m0, 0x1100, s49                                  // 00000000A808: 807C31FF 00001100
	buffer_load_dword v83, s[20:23], 0 offen lds               // 00000000A810: E0511000 80050053
	s_add_u32 m0, 0, s50                                       // 00000000A818: 807C3280
	s_waitcnt vmcnt(20)                                        // 00000000A81C: BF8C4F74
	s_barrier                                                  // 00000000A820: BF8A0000
	v_mfma_f32_16x16x32_fp8_fp8 v[124:127], a[160:161], a[72:73], v[124:127]// 00000000A824: D3F3007C 1DF291A0
	buffer_load_dwordx4 a[152:155], v84, s[84:87], 0 offen     // 00000000A82C: E05C1000 80959854
	v_mfma_f32_16x16x32_fp8_fp8 v[124:127], a[162:163], a[74:75], v[124:127]// 00000000A834: D3F3007C 1DF295A2
	v_mfma_f32_16x16x32_fp8_fp8 v[124:127], a[164:165], a[76:77], v[124:127]// 00000000A83C: D3F3007C 1DF299A4
	ds_read_b128 a[0:3], v2                                    // 00000000A844: DBFE0000 00000002
	ds_read_b128 a[4:7], v2 offset:64                          // 00000000A84C: DBFE0040 04000002
	v_mfma_f32_16x16x32_fp8_fp8 v[124:127], a[166:167], a[78:79], v[124:127]// 00000000A854: D3F3007C 1DF29DA6
	v_mfma_f32_16x16x32_fp8_fp8 v[128:131], a[160:161], a[80:81], v[128:131]// 00000000A85C: D3F30080 1E02A1A0
	buffer_load_dwordx4 a[156:159], v84, s[84:87], 0 offen offset:1024// 00000000A864: E05C1400 80959C54
	v_mfma_f32_16x16x32_fp8_fp8 v[128:131], a[162:163], a[82:83], v[128:131]// 00000000A86C: D3F30080 1E02A5A2
	v_mfma_f32_16x16x32_fp8_fp8 v[128:131], a[164:165], a[84:85], v[128:131]// 00000000A874: D3F30080 1E02A9A4
	ds_read_b128 a[8:11], v2 offset:512                        // 00000000A87C: DBFE0200 08000002
	ds_read_b128 a[12:15], v2 offset:576                       // 00000000A884: DBFE0240 0C000002
	v_mfma_f32_16x16x32_fp8_fp8 v[128:131], a[166:167], a[86:87], v[128:131]// 00000000A88C: D3F30080 1E02ADA6
	v_mfma_f32_16x16x32_fp8_fp8 v[132:135], a[160:161], a[88:89], v[132:135]// 00000000A894: D3F30084 1E12B1A0
	v_mfma_f32_16x16x32_fp8_fp8 v[132:135], a[162:163], a[90:91], v[132:135]// 00000000A89C: D3F30084 1E12B5A2
	v_mfma_f32_16x16x32_fp8_fp8 v[132:135], a[164:165], a[92:93], v[132:135]// 00000000A8A4: D3F30084 1E12B9A4
	ds_read_b128 a[16:19], v2 offset:1024                      // 00000000A8AC: DBFE0400 10000002
	ds_read_b128 a[20:23], v2 offset:1088                      // 00000000A8B4: DBFE0440 14000002
	v_mfma_f32_16x16x32_fp8_fp8 v[132:135], a[166:167], a[94:95], v[132:135]// 00000000A8BC: D3F30084 1E12BDA6
	v_mfma_f32_16x16x32_fp8_fp8 v[136:139], a[160:161], a[96:97], v[136:139]// 00000000A8C4: D3F30088 1E22C1A0
	v_mfma_f32_16x16x32_fp8_fp8 v[136:139], a[162:163], a[98:99], v[136:139]// 00000000A8CC: D3F30088 1E22C5A2
	v_mfma_f32_16x16x32_fp8_fp8 v[136:139], a[164:165], a[100:101], v[136:139]// 00000000A8D4: D3F30088 1E22C9A4
	ds_read_b128 a[24:27], v2 offset:1536                      // 00000000A8DC: DBFE0600 18000002
	ds_read_b128 a[28:31], v2 offset:1600                      // 00000000A8E4: DBFE0640 1C000002
	v_mfma_f32_16x16x32_fp8_fp8 v[136:139], a[166:167], a[102:103], v[136:139]// 00000000A8EC: D3F30088 1E22CDA6
	v_mfma_f32_16x16x32_fp8_fp8 v[140:143], a[160:161], a[104:105], v[140:143]// 00000000A8F4: D3F3008C 1E32D1A0
	v_mfma_f32_16x16x32_fp8_fp8 v[140:143], a[162:163], a[106:107], v[140:143]// 00000000A8FC: D3F3008C 1E32D5A2
	v_mfma_f32_16x16x32_fp8_fp8 v[140:143], a[164:165], a[108:109], v[140:143]// 00000000A904: D3F3008C 1E32D9A4
	ds_read_b128 a[32:35], v2 offset:2048                      // 00000000A90C: DBFE0800 20000002
	ds_read_b128 a[36:39], v2 offset:2112                      // 00000000A914: DBFE0840 24000002
	v_mfma_f32_16x16x32_fp8_fp8 v[140:143], a[166:167], a[110:111], v[140:143]// 00000000A91C: D3F3008C 1E32DDA6
	v_mfma_f32_16x16x32_fp8_fp8 v[144:147], a[160:161], a[112:113], v[144:147]// 00000000A924: D3F30090 1E42E1A0
	v_mfma_f32_16x16x32_fp8_fp8 v[144:147], a[162:163], a[114:115], v[144:147]// 00000000A92C: D3F30090 1E42E5A2
	v_mfma_f32_16x16x32_fp8_fp8 v[144:147], a[164:165], a[116:117], v[144:147]// 00000000A934: D3F30090 1E42E9A4
	ds_read_b128 a[40:43], v2 offset:2560                      // 00000000A93C: DBFE0A00 28000002
	ds_read_b128 a[44:47], v2 offset:2624                      // 00000000A944: DBFE0A40 2C000002
	v_mfma_f32_16x16x32_fp8_fp8 v[144:147], a[166:167], a[118:119], v[144:147]// 00000000A94C: D3F30090 1E42EDA6
	v_mfma_f32_16x16x32_fp8_fp8 v[148:151], a[160:161], a[120:121], v[148:151]// 00000000A954: D3F30094 1E52F1A0
	v_mfma_f32_16x16x32_fp8_fp8 v[148:151], a[162:163], a[122:123], v[148:151]// 00000000A95C: D3F30094 1E52F5A2
	v_mfma_f32_16x16x32_fp8_fp8 v[148:151], a[164:165], a[124:125], v[148:151]// 00000000A964: D3F30094 1E52F9A4
	ds_read_b128 a[48:51], v2 offset:3072                      // 00000000A96C: DBFE0C00 30000002
	ds_read_b128 a[52:55], v2 offset:3136                      // 00000000A974: DBFE0C40 34000002
	v_mfma_f32_16x16x32_fp8_fp8 v[148:151], a[166:167], a[126:127], v[148:151]// 00000000A97C: D3F30094 1E52FDA6
	v_mfma_f32_16x16x32_fp8_fp8 v[152:155], a[160:161], a[128:129], v[152:155]// 00000000A984: D3F30098 1E6301A0
	s_add_u32 s60, 0x180, s80                                  // 00000000A98C: 803C50FF 00000180
	s_cmp_lt_u32 s60, s81                                      // 00000000A994: BF0A513C
	s_cselect_b32 s57, s57, 0                                  // 00000000A998: 85398039
	v_mfma_f32_16x16x32_fp8_fp8 v[152:155], a[162:163], a[130:131], v[152:155]// 00000000A99C: D3F30098 1E6305A2
	s_add_u32 s60, 0x100, s80                                  // 00000000A9A4: 803C50FF 00000100
	s_cmp_lt_u32 s60, s81                                      // 00000000A9AC: BF0A513C
	s_cselect_b32 s58, s58, 0                                  // 00000000A9B0: 853A803A
	v_mfma_f32_16x16x32_fp8_fp8 v[152:155], a[164:165], a[132:133], v[152:155]// 00000000A9B4: D3F30098 1E6309A4
	ds_read_b128 a[56:59], v2 offset:3584                      // 00000000A9BC: DBFE0E00 38000002
	ds_read_b128 a[60:63], v2 offset:3648                      // 00000000A9C4: DBFE0E40 3C000002
	s_add_u32 s60, 0x100, s80                                  // 00000000A9CC: 803C50FF 00000100
	s_cmp_lt_u32 s60, s81                                      // 00000000A9D4: BF0A513C
	s_cselect_b32 s83, s83, 0                                  // 00000000A9D8: 85538053
	v_mfma_f32_16x16x32_fp8_fp8 v[152:155], a[166:167], a[134:135], v[152:155]// 00000000A9DC: D3F30098 1E630DA6
	s_add_u32 s24, s58, s24                                    // 00000000A9E4: 8018183A
	s_addc_u32 s25, 0, s25                                     // 00000000A9E8: 82191980
	v_mfma_f32_16x16x32_fp8_fp8 v[156:159], a[160:161], a[136:137], v[156:159]// 00000000A9EC: D3F3009C 1E7311A0
	s_add_u32 s20, s57, s20                                    // 00000000A9F4: 80141439
	s_addc_u32 s21, 0, s21                                     // 00000000A9F8: 82151580
	v_mfma_f32_16x16x32_fp8_fp8 v[156:159], a[162:163], a[138:139], v[156:159]// 00000000A9FC: D3F3009C 1E7315A2
	s_add_u32 s84, s83, s84                                    // 00000000AA04: 80545453
	s_addc_u32 s85, 0, s85                                     // 00000000AA08: 82555580
	v_mfma_f32_16x16x32_fp8_fp8 v[156:159], a[164:165], a[140:141], v[156:159]// 00000000AA0C: D3F3009C 1E7319A4
	ds_read_b128 a[64:67], v2 offset:4096                      // 00000000AA14: DBFE1000 40000002
	ds_read_b128 a[68:71], v2 offset:4160                      // 00000000AA1C: DBFE1040 44000002
	v_mfma_f32_16x16x32_fp8_fp8 v[156:159], a[166:167], a[142:143], v[156:159]// 00000000AA24: D3F3009C 1E731DA6
	s_addk_i32 s80, 0x80                                       // 00000000AA2C: B7500080
	s_cmp_lt_i32 s80, s81                                      // 00000000AA30: BF045150
	s_cbranch_scc0 label_2012                                  // 00000000AA34: BF840001
	s_branch label_196F                                        // 00000000AA38: BF82F95D

000000000000aa3c <label_2012>:
	v_mul_f32_dpp v88, v24, v88 row_newbcast:0 row_mask:0xf bank_mask:0xf// 00000000AA3C: 0AB0B0FA FF015018
	v_mul_f32_dpp v89, v24, v89 row_newbcast:1 row_mask:0xf bank_mask:0xf// 00000000AA44: 0AB2B2FA FF015118
	v_mul_f32_dpp v90, v24, v90 row_newbcast:2 row_mask:0xf bank_mask:0xf// 00000000AA4C: 0AB4B4FA FF015218
	v_mul_f32_dpp v91, v24, v91 row_newbcast:3 row_mask:0xf bank_mask:0xf// 00000000AA54: 0AB6B6FA FF015318
	v_mul_f32_dpp v92, v24, v92 row_newbcast:0 row_mask:0xf bank_mask:0xf// 00000000AA5C: 0AB8B8FA FF015018
	v_mul_f32_dpp v93, v24, v93 row_newbcast:1 row_mask:0xf bank_mask:0xf// 00000000AA64: 0ABABAFA FF015118
	v_mul_f32_dpp v94, v24, v94 row_newbcast:2 row_mask:0xf bank_mask:0xf// 00000000AA6C: 0ABCBCFA FF015218
	v_mul_f32_dpp v95, v24, v95 row_newbcast:3 row_mask:0xf bank_mask:0xf// 00000000AA74: 0ABEBEFA FF015318
	v_mul_f32_dpp v96, v24, v96 row_newbcast:0 row_mask:0xf bank_mask:0xf// 00000000AA7C: 0AC0C0FA FF015018
	v_mul_f32_dpp v97, v24, v97 row_newbcast:1 row_mask:0xf bank_mask:0xf// 00000000AA84: 0AC2C2FA FF015118
	v_mul_f32_dpp v98, v24, v98 row_newbcast:2 row_mask:0xf bank_mask:0xf// 00000000AA8C: 0AC4C4FA FF015218
	v_mul_f32_dpp v99, v24, v99 row_newbcast:3 row_mask:0xf bank_mask:0xf// 00000000AA94: 0AC6C6FA FF015318
	v_mul_f32_dpp v100, v24, v100 row_newbcast:0 row_mask:0xf bank_mask:0xf// 00000000AA9C: 0AC8C8FA FF015018
	v_mul_f32_dpp v101, v24, v101 row_newbcast:1 row_mask:0xf bank_mask:0xf// 00000000AAA4: 0ACACAFA FF015118
	v_mul_f32_dpp v102, v24, v102 row_newbcast:2 row_mask:0xf bank_mask:0xf// 00000000AAAC: 0ACCCCFA FF015218
	v_mul_f32_dpp v103, v24, v103 row_newbcast:3 row_mask:0xf bank_mask:0xf// 00000000AAB4: 0ACECEFA FF015318
	v_mul_f32_dpp v104, v24, v104 row_newbcast:0 row_mask:0xf bank_mask:0xf// 00000000AABC: 0AD0D0FA FF015018
	v_mul_f32_dpp v105, v24, v105 row_newbcast:1 row_mask:0xf bank_mask:0xf// 00000000AAC4: 0AD2D2FA FF015118
	v_mul_f32_dpp v106, v24, v106 row_newbcast:2 row_mask:0xf bank_mask:0xf// 00000000AACC: 0AD4D4FA FF015218
	v_mul_f32_dpp v107, v24, v107 row_newbcast:3 row_mask:0xf bank_mask:0xf// 00000000AAD4: 0AD6D6FA FF015318
	v_mul_f32_dpp v108, v24, v108 row_newbcast:0 row_mask:0xf bank_mask:0xf// 00000000AADC: 0AD8D8FA FF015018
	v_mul_f32_dpp v109, v24, v109 row_newbcast:1 row_mask:0xf bank_mask:0xf// 00000000AAE4: 0ADADAFA FF015118
	v_mul_f32_dpp v110, v24, v110 row_newbcast:2 row_mask:0xf bank_mask:0xf// 00000000AAEC: 0ADCDCFA FF015218
	v_mul_f32_dpp v111, v24, v111 row_newbcast:3 row_mask:0xf bank_mask:0xf// 00000000AAF4: 0ADEDEFA FF015318
	v_mul_f32_dpp v112, v24, v112 row_newbcast:0 row_mask:0xf bank_mask:0xf// 00000000AAFC: 0AE0E0FA FF015018
	v_mul_f32_dpp v113, v24, v113 row_newbcast:1 row_mask:0xf bank_mask:0xf// 00000000AB04: 0AE2E2FA FF015118
	v_mul_f32_dpp v114, v24, v114 row_newbcast:2 row_mask:0xf bank_mask:0xf// 00000000AB0C: 0AE4E4FA FF015218
	v_mul_f32_dpp v115, v24, v115 row_newbcast:3 row_mask:0xf bank_mask:0xf// 00000000AB14: 0AE6E6FA FF015318
	v_mul_f32_dpp v116, v24, v116 row_newbcast:0 row_mask:0xf bank_mask:0xf// 00000000AB1C: 0AE8E8FA FF015018
	v_mul_f32_dpp v117, v24, v117 row_newbcast:1 row_mask:0xf bank_mask:0xf// 00000000AB24: 0AEAEAFA FF015118
	v_mul_f32_dpp v118, v24, v118 row_newbcast:2 row_mask:0xf bank_mask:0xf// 00000000AB2C: 0AECECFA FF015218
	v_mul_f32_dpp v119, v24, v119 row_newbcast:3 row_mask:0xf bank_mask:0xf// 00000000AB34: 0AEEEEFA FF015318
	v_mul_f32_dpp v120, v24, v120 row_newbcast:0 row_mask:0xf bank_mask:0xf// 00000000AB3C: 0AF0F0FA FF015018
	v_mul_f32_dpp v121, v24, v121 row_newbcast:1 row_mask:0xf bank_mask:0xf// 00000000AB44: 0AF2F2FA FF015118
	v_mul_f32_dpp v122, v24, v122 row_newbcast:2 row_mask:0xf bank_mask:0xf// 00000000AB4C: 0AF4F4FA FF015218
	v_mul_f32_dpp v123, v24, v123 row_newbcast:3 row_mask:0xf bank_mask:0xf// 00000000AB54: 0AF6F6FA FF015318
	v_mul_f32_dpp v124, v27, v124 row_newbcast:0 row_mask:0xf bank_mask:0xf// 00000000AB5C: 0AF8F8FA FF01501B
	v_mul_f32_dpp v125, v27, v125 row_newbcast:1 row_mask:0xf bank_mask:0xf// 00000000AB64: 0AFAFAFA FF01511B
	v_mul_f32_dpp v126, v27, v126 row_newbcast:2 row_mask:0xf bank_mask:0xf// 00000000AB6C: 0AFCFCFA FF01521B
	v_mul_f32_dpp v127, v27, v127 row_newbcast:3 row_mask:0xf bank_mask:0xf// 00000000AB74: 0AFEFEFA FF01531B
	v_mul_f32_dpp v128, v27, v128 row_newbcast:0 row_mask:0xf bank_mask:0xf// 00000000AB7C: 0B0100FA FF01501B
	v_mul_f32_dpp v129, v27, v129 row_newbcast:1 row_mask:0xf bank_mask:0xf// 00000000AB84: 0B0302FA FF01511B
	v_mul_f32_dpp v130, v27, v130 row_newbcast:2 row_mask:0xf bank_mask:0xf// 00000000AB8C: 0B0504FA FF01521B
	v_mul_f32_dpp v131, v27, v131 row_newbcast:3 row_mask:0xf bank_mask:0xf// 00000000AB94: 0B0706FA FF01531B
	v_mul_f32_dpp v132, v27, v132 row_newbcast:0 row_mask:0xf bank_mask:0xf// 00000000AB9C: 0B0908FA FF01501B
	v_mul_f32_dpp v133, v27, v133 row_newbcast:1 row_mask:0xf bank_mask:0xf// 00000000ABA4: 0B0B0AFA FF01511B
	v_mul_f32_dpp v134, v27, v134 row_newbcast:2 row_mask:0xf bank_mask:0xf// 00000000ABAC: 0B0D0CFA FF01521B
	v_mul_f32_dpp v135, v27, v135 row_newbcast:3 row_mask:0xf bank_mask:0xf// 00000000ABB4: 0B0F0EFA FF01531B
	v_mul_f32_dpp v136, v27, v136 row_newbcast:0 row_mask:0xf bank_mask:0xf// 00000000ABBC: 0B1110FA FF01501B
	v_mul_f32_dpp v137, v27, v137 row_newbcast:1 row_mask:0xf bank_mask:0xf// 00000000ABC4: 0B1312FA FF01511B
	v_mul_f32_dpp v138, v27, v138 row_newbcast:2 row_mask:0xf bank_mask:0xf// 00000000ABCC: 0B1514FA FF01521B
	v_mul_f32_dpp v139, v27, v139 row_newbcast:3 row_mask:0xf bank_mask:0xf// 00000000ABD4: 0B1716FA FF01531B
	v_mul_f32_dpp v140, v27, v140 row_newbcast:0 row_mask:0xf bank_mask:0xf// 00000000ABDC: 0B1918FA FF01501B
	v_mul_f32_dpp v141, v27, v141 row_newbcast:1 row_mask:0xf bank_mask:0xf// 00000000ABE4: 0B1B1AFA FF01511B
	v_mul_f32_dpp v142, v27, v142 row_newbcast:2 row_mask:0xf bank_mask:0xf// 00000000ABEC: 0B1D1CFA FF01521B
	v_mul_f32_dpp v143, v27, v143 row_newbcast:3 row_mask:0xf bank_mask:0xf// 00000000ABF4: 0B1F1EFA FF01531B
	v_mul_f32_dpp v144, v27, v144 row_newbcast:0 row_mask:0xf bank_mask:0xf// 00000000ABFC: 0B2120FA FF01501B
	v_mul_f32_dpp v145, v27, v145 row_newbcast:1 row_mask:0xf bank_mask:0xf// 00000000AC04: 0B2322FA FF01511B
	v_mul_f32_dpp v146, v27, v146 row_newbcast:2 row_mask:0xf bank_mask:0xf// 00000000AC0C: 0B2524FA FF01521B
	v_mul_f32_dpp v147, v27, v147 row_newbcast:3 row_mask:0xf bank_mask:0xf// 00000000AC14: 0B2726FA FF01531B
	v_mul_f32_dpp v148, v27, v148 row_newbcast:0 row_mask:0xf bank_mask:0xf// 00000000AC1C: 0B2928FA FF01501B
	v_mul_f32_dpp v149, v27, v149 row_newbcast:1 row_mask:0xf bank_mask:0xf// 00000000AC24: 0B2B2AFA FF01511B
	v_mul_f32_dpp v150, v27, v150 row_newbcast:2 row_mask:0xf bank_mask:0xf// 00000000AC2C: 0B2D2CFA FF01521B
	v_mul_f32_dpp v151, v27, v151 row_newbcast:3 row_mask:0xf bank_mask:0xf// 00000000AC34: 0B2F2EFA FF01531B
	v_mul_f32_dpp v152, v27, v152 row_newbcast:0 row_mask:0xf bank_mask:0xf// 00000000AC3C: 0B3130FA FF01501B
	v_mul_f32_dpp v153, v27, v153 row_newbcast:1 row_mask:0xf bank_mask:0xf// 00000000AC44: 0B3332FA FF01511B
	v_mul_f32_dpp v154, v27, v154 row_newbcast:2 row_mask:0xf bank_mask:0xf// 00000000AC4C: 0B3534FA FF01521B
	v_mul_f32_dpp v155, v27, v155 row_newbcast:3 row_mask:0xf bank_mask:0xf// 00000000AC54: 0B3736FA FF01531B
	v_mul_f32_dpp v156, v27, v156 row_newbcast:0 row_mask:0xf bank_mask:0xf// 00000000AC5C: 0B3938FA FF01501B
	v_mul_f32_dpp v157, v27, v157 row_newbcast:1 row_mask:0xf bank_mask:0xf// 00000000AC64: 0B3B3AFA FF01511B
	v_mul_f32_dpp v158, v27, v158 row_newbcast:2 row_mask:0xf bank_mask:0xf// 00000000AC6C: 0B3D3CFA FF01521B
	v_mul_f32_dpp v159, v27, v159 row_newbcast:3 row_mask:0xf bank_mask:0xf// 00000000AC74: 0B3F3EFA FF01531B
	v_mov_b32_e32 v4, v39                                      // 00000000AC7C: 7E080327
	v_mov_b32_e32 v5, v4                                       // 00000000AC80: 7E0A0304
	v_pk_mul_f32 v[88:89], v[4:5], v[88:89]                    // 00000000AC84: D3B14058 1802B104
	v_pk_mul_f32 v[124:125], v[4:5], v[124:125]                // 00000000AC8C: D3B1407C 1802F904
	v_pk_mul_f32 v[90:91], v[4:5], v[90:91]                    // 00000000AC94: D3B1405A 1802B504
	v_pk_mul_f32 v[126:127], v[4:5], v[126:127]                // 00000000AC9C: D3B1407E 1802FD04
	v_mov_b32_e32 v4, v40                                      // 00000000ACA4: 7E080328
	v_mov_b32_e32 v5, v4                                       // 00000000ACA8: 7E0A0304
	v_pk_mul_f32 v[92:93], v[4:5], v[92:93]                    // 00000000ACAC: D3B1405C 1802B904
	v_pk_mul_f32 v[128:129], v[4:5], v[128:129]                // 00000000ACB4: D3B14080 18030104
	v_pk_mul_f32 v[94:95], v[4:5], v[94:95]                    // 00000000ACBC: D3B1405E 1802BD04
	v_pk_mul_f32 v[130:131], v[4:5], v[130:131]                // 00000000ACC4: D3B14082 18030504
	v_mov_b32_e32 v4, v41                                      // 00000000ACCC: 7E080329
	v_mov_b32_e32 v5, v4                                       // 00000000ACD0: 7E0A0304
	v_pk_mul_f32 v[96:97], v[4:5], v[96:97]                    // 00000000ACD4: D3B14060 1802C104
	v_pk_mul_f32 v[132:133], v[4:5], v[132:133]                // 00000000ACDC: D3B14084 18030904
	v_pk_mul_f32 v[98:99], v[4:5], v[98:99]                    // 00000000ACE4: D3B14062 1802C504
	v_pk_mul_f32 v[134:135], v[4:5], v[134:135]                // 00000000ACEC: D3B14086 18030D04
	v_mov_b32_e32 v4, v42                                      // 00000000ACF4: 7E08032A
	v_mov_b32_e32 v5, v4                                       // 00000000ACF8: 7E0A0304
	v_pk_mul_f32 v[100:101], v[4:5], v[100:101]                // 00000000ACFC: D3B14064 1802C904
	v_pk_mul_f32 v[136:137], v[4:5], v[136:137]                // 00000000AD04: D3B14088 18031104
	v_pk_mul_f32 v[102:103], v[4:5], v[102:103]                // 00000000AD0C: D3B14066 1802CD04
	v_pk_mul_f32 v[138:139], v[4:5], v[138:139]                // 00000000AD14: D3B1408A 18031504
	v_mov_b32_e32 v4, v43                                      // 00000000AD1C: 7E08032B
	v_mov_b32_e32 v5, v4                                       // 00000000AD20: 7E0A0304
	v_pk_mul_f32 v[104:105], v[4:5], v[104:105]                // 00000000AD24: D3B14068 1802D104
	v_pk_mul_f32 v[140:141], v[4:5], v[140:141]                // 00000000AD2C: D3B1408C 18031904
	v_pk_mul_f32 v[106:107], v[4:5], v[106:107]                // 00000000AD34: D3B1406A 1802D504
	v_pk_mul_f32 v[142:143], v[4:5], v[142:143]                // 00000000AD3C: D3B1408E 18031D04
	v_mov_b32_e32 v4, v44                                      // 00000000AD44: 7E08032C
	v_mov_b32_e32 v5, v4                                       // 00000000AD48: 7E0A0304
	v_pk_mul_f32 v[108:109], v[4:5], v[108:109]                // 00000000AD4C: D3B1406C 1802D904
	v_pk_mul_f32 v[144:145], v[4:5], v[144:145]                // 00000000AD54: D3B14090 18032104
	v_pk_mul_f32 v[110:111], v[4:5], v[110:111]                // 00000000AD5C: D3B1406E 1802DD04
	v_pk_mul_f32 v[146:147], v[4:5], v[146:147]                // 00000000AD64: D3B14092 18032504
	v_mov_b32_e32 v4, v45                                      // 00000000AD6C: 7E08032D
	v_mov_b32_e32 v5, v4                                       // 00000000AD70: 7E0A0304
	v_pk_mul_f32 v[112:113], v[4:5], v[112:113]                // 00000000AD74: D3B14070 1802E104
	v_pk_mul_f32 v[148:149], v[4:5], v[148:149]                // 00000000AD7C: D3B14094 18032904
	v_pk_mul_f32 v[114:115], v[4:5], v[114:115]                // 00000000AD84: D3B14072 1802E504
	v_pk_mul_f32 v[150:151], v[4:5], v[150:151]                // 00000000AD8C: D3B14096 18032D04
	v_mov_b32_e32 v4, v46                                      // 00000000AD94: 7E08032E
	v_mov_b32_e32 v5, v4                                       // 00000000AD98: 7E0A0304
	v_pk_mul_f32 v[116:117], v[4:5], v[116:117]                // 00000000AD9C: D3B14074 1802E904
	v_pk_mul_f32 v[152:153], v[4:5], v[152:153]                // 00000000ADA4: D3B14098 18033104
	v_pk_mul_f32 v[118:119], v[4:5], v[118:119]                // 00000000ADAC: D3B14076 1802ED04
	v_pk_mul_f32 v[154:155], v[4:5], v[154:155]                // 00000000ADB4: D3B1409A 18033504
	v_mov_b32_e32 v4, v47                                      // 00000000ADBC: 7E08032F
	v_mov_b32_e32 v5, v4                                       // 00000000ADC0: 7E0A0304
	v_pk_mul_f32 v[120:121], v[4:5], v[120:121]                // 00000000ADC4: D3B14078 1802F104
	v_pk_mul_f32 v[156:157], v[4:5], v[156:157]                // 00000000ADCC: D3B1409C 18033904
	v_pk_mul_f32 v[122:123], v[4:5], v[122:123]                // 00000000ADD4: D3B1407A 1802F504
	v_pk_mul_f32 v[158:159], v[4:5], v[158:159]                // 00000000ADDC: D3B1409E 18033D04
	s_cmp_eq_u32 s88, 0                                        // 00000000ADE4: BF068058
	s_cbranch_scc0 label_27A9                                  // 00000000ADE8: BF8406AB
	s_cmp_eq_u32 s89, 0                                        // 00000000ADEC: BF068059
	s_cbranch_scc1 label_226D                                  // 00000000ADF0: BF85016D
	v_mov_b32_e32 v8, v1                                       // 00000000ADF4: 7E100301
	v_mov_b32_e32 v9, v1                                       // 00000000ADF8: 7E120301
	s_mov_b32 s60, s6                                          // 00000000ADFC: BEBC0006
	s_mov_b32 s61, s6                                          // 00000000AE00: BEBD0006
	v_pk_mul_f32 v[4:5], v[88:89], v[88:89]                    // 00000000AE04: D3B14004 1802B158
	v_pk_mul_f32 v[6:7], v[90:91], v[90:91]                    // 00000000AE0C: D3B14006 1802B55A
	v_pk_fma_f32 v[4:5], v[4:5], s[78:79], v[8:9]              // 00000000AE14: D3B04004 1C209D04
	v_pk_fma_f32 v[6:7], v[6:7], s[78:79], v[8:9]              // 00000000AE1C: D3B04006 1C209D06
	v_pk_mul_f32 v[4:5], v[4:5], v[88:89]                      // 00000000AE24: D3B14004 1802B104
	v_pk_mul_f32 v[6:7], v[6:7], v[90:91]                      // 00000000AE2C: D3B14006 1802B506
	v_pk_mul_f32 v[4:5], v[4:5], s[60:61]                      // 00000000AE34: D3B14004 18007904
	v_pk_mul_f32 v[6:7], v[6:7], s[60:61]                      // 00000000AE3C: D3B14006 18007906
	v_exp_f32_e32 v4, v4                                       // 00000000AE44: 7E084104
	v_exp_f32_e32 v5, v5                                       // 00000000AE48: 7E0A4105
	v_exp_f32_e32 v6, v6                                       // 00000000AE4C: 7E0C4106
	v_exp_f32_e32 v7, v7                                       // 00000000AE50: 7E0E4107
	v_add_f32_e64 v4, v4, 1.0                                  // 00000000AE54: D1010004 0001E504
	v_add_f32_e64 v5, v5, 1.0                                  // 00000000AE5C: D1010005 0001E505
	v_add_f32_e64 v6, v6, 1.0                                  // 00000000AE64: D1010006 0001E506
	v_add_f32_e64 v7, v7, 1.0                                  // 00000000AE6C: D1010007 0001E507
	v_rcp_f32_e32 v4, v4                                       // 00000000AE74: 7E084504
	v_rcp_f32_e32 v5, v5                                       // 00000000AE78: 7E0A4505
	v_rcp_f32_e32 v6, v6                                       // 00000000AE7C: 7E0C4506
	v_rcp_f32_e32 v7, v7                                       // 00000000AE80: 7E0E4507
	v_mul_f32_e32 v88, v88, v4                                 // 00000000AE84: 0AB00958
	v_mul_f32_e32 v89, v89, v5                                 // 00000000AE88: 0AB20B59
	v_mul_f32_e32 v90, v90, v6                                 // 00000000AE8C: 0AB40D5A
	v_mul_f32_e32 v91, v91, v7                                 // 00000000AE90: 0AB60F5B
	v_mul_f32_e32 v88, v88, v124                               // 00000000AE94: 0AB0F958
	v_mul_f32_e32 v89, v89, v125                               // 00000000AE98: 0AB2FB59
	v_mul_f32_e32 v90, v90, v126                               // 00000000AE9C: 0AB4FD5A
	v_mul_f32_e32 v91, v91, v127                               // 00000000AEA0: 0AB6FF5B
	v_pk_mul_f32 v[4:5], v[92:93], v[92:93]                    // 00000000AEA4: D3B14004 1802B95C
	v_pk_mul_f32 v[6:7], v[94:95], v[94:95]                    // 00000000AEAC: D3B14006 1802BD5E
	v_pk_fma_f32 v[4:5], v[4:5], s[78:79], v[8:9]              // 00000000AEB4: D3B04004 1C209D04
	v_pk_fma_f32 v[6:7], v[6:7], s[78:79], v[8:9]              // 00000000AEBC: D3B04006 1C209D06
	v_pk_mul_f32 v[4:5], v[4:5], v[92:93]                      // 00000000AEC4: D3B14004 1802B904
	v_pk_mul_f32 v[6:7], v[6:7], v[94:95]                      // 00000000AECC: D3B14006 1802BD06
	v_pk_mul_f32 v[4:5], v[4:5], s[60:61]                      // 00000000AED4: D3B14004 18007904
	v_pk_mul_f32 v[6:7], v[6:7], s[60:61]                      // 00000000AEDC: D3B14006 18007906
	v_exp_f32_e32 v4, v4                                       // 00000000AEE4: 7E084104
	v_exp_f32_e32 v5, v5                                       // 00000000AEE8: 7E0A4105
	v_exp_f32_e32 v6, v6                                       // 00000000AEEC: 7E0C4106
	v_exp_f32_e32 v7, v7                                       // 00000000AEF0: 7E0E4107
	v_add_f32_e64 v4, v4, 1.0                                  // 00000000AEF4: D1010004 0001E504
	v_add_f32_e64 v5, v5, 1.0                                  // 00000000AEFC: D1010005 0001E505
	v_add_f32_e64 v6, v6, 1.0                                  // 00000000AF04: D1010006 0001E506
	v_add_f32_e64 v7, v7, 1.0                                  // 00000000AF0C: D1010007 0001E507
	v_rcp_f32_e32 v4, v4                                       // 00000000AF14: 7E084504
	v_rcp_f32_e32 v5, v5                                       // 00000000AF18: 7E0A4505
	v_rcp_f32_e32 v6, v6                                       // 00000000AF1C: 7E0C4506
	v_rcp_f32_e32 v7, v7                                       // 00000000AF20: 7E0E4507
	v_mul_f32_e32 v92, v92, v4                                 // 00000000AF24: 0AB8095C
	v_mul_f32_e32 v93, v93, v5                                 // 00000000AF28: 0ABA0B5D
	v_mul_f32_e32 v94, v94, v6                                 // 00000000AF2C: 0ABC0D5E
	v_mul_f32_e32 v95, v95, v7                                 // 00000000AF30: 0ABE0F5F
	v_mul_f32_e32 v92, v92, v128                               // 00000000AF34: 0AB9015C
	v_mul_f32_e32 v93, v93, v129                               // 00000000AF38: 0ABB035D
	v_mul_f32_e32 v94, v94, v130                               // 00000000AF3C: 0ABD055E
	v_mul_f32_e32 v95, v95, v131                               // 00000000AF40: 0ABF075F
	v_pk_mul_f32 v[4:5], v[96:97], v[96:97]                    // 00000000AF44: D3B14004 1802C160
	v_pk_mul_f32 v[6:7], v[98:99], v[98:99]                    // 00000000AF4C: D3B14006 1802C562
	v_pk_fma_f32 v[4:5], v[4:5], s[78:79], v[8:9]              // 00000000AF54: D3B04004 1C209D04
	v_pk_fma_f32 v[6:7], v[6:7], s[78:79], v[8:9]              // 00000000AF5C: D3B04006 1C209D06
	v_pk_mul_f32 v[4:5], v[4:5], v[96:97]                      // 00000000AF64: D3B14004 1802C104
	v_pk_mul_f32 v[6:7], v[6:7], v[98:99]                      // 00000000AF6C: D3B14006 1802C506
	v_pk_mul_f32 v[4:5], v[4:5], s[60:61]                      // 00000000AF74: D3B14004 18007904
	v_pk_mul_f32 v[6:7], v[6:7], s[60:61]                      // 00000000AF7C: D3B14006 18007906
	v_exp_f32_e32 v4, v4                                       // 00000000AF84: 7E084104
	v_exp_f32_e32 v5, v5                                       // 00000000AF88: 7E0A4105
	v_exp_f32_e32 v6, v6                                       // 00000000AF8C: 7E0C4106
	v_exp_f32_e32 v7, v7                                       // 00000000AF90: 7E0E4107
	v_add_f32_e64 v4, v4, 1.0                                  // 00000000AF94: D1010004 0001E504
	v_add_f32_e64 v5, v5, 1.0                                  // 00000000AF9C: D1010005 0001E505
	v_add_f32_e64 v6, v6, 1.0                                  // 00000000AFA4: D1010006 0001E506
	v_add_f32_e64 v7, v7, 1.0                                  // 00000000AFAC: D1010007 0001E507
	v_rcp_f32_e32 v4, v4                                       // 00000000AFB4: 7E084504
	v_rcp_f32_e32 v5, v5                                       // 00000000AFB8: 7E0A4505
	v_rcp_f32_e32 v6, v6                                       // 00000000AFBC: 7E0C4506
	v_rcp_f32_e32 v7, v7                                       // 00000000AFC0: 7E0E4507
	v_mul_f32_e32 v96, v96, v4                                 // 00000000AFC4: 0AC00960
	v_mul_f32_e32 v97, v97, v5                                 // 00000000AFC8: 0AC20B61
	v_mul_f32_e32 v98, v98, v6                                 // 00000000AFCC: 0AC40D62
	v_mul_f32_e32 v99, v99, v7                                 // 00000000AFD0: 0AC60F63
	v_mul_f32_e32 v96, v96, v132                               // 00000000AFD4: 0AC10960
	v_mul_f32_e32 v97, v97, v133                               // 00000000AFD8: 0AC30B61
	v_mul_f32_e32 v98, v98, v134                               // 00000000AFDC: 0AC50D62
	v_mul_f32_e32 v99, v99, v135                               // 00000000AFE0: 0AC70F63
	v_pk_mul_f32 v[4:5], v[100:101], v[100:101]                // 00000000AFE4: D3B14004 1802C964
	v_pk_mul_f32 v[6:7], v[102:103], v[102:103]                // 00000000AFEC: D3B14006 1802CD66
	v_pk_fma_f32 v[4:5], v[4:5], s[78:79], v[8:9]              // 00000000AFF4: D3B04004 1C209D04
	v_pk_fma_f32 v[6:7], v[6:7], s[78:79], v[8:9]              // 00000000AFFC: D3B04006 1C209D06
	v_pk_mul_f32 v[4:5], v[4:5], v[100:101]                    // 00000000B004: D3B14004 1802C904
	v_pk_mul_f32 v[6:7], v[6:7], v[102:103]                    // 00000000B00C: D3B14006 1802CD06
	v_pk_mul_f32 v[4:5], v[4:5], s[60:61]                      // 00000000B014: D3B14004 18007904
	v_pk_mul_f32 v[6:7], v[6:7], s[60:61]                      // 00000000B01C: D3B14006 18007906
	v_exp_f32_e32 v4, v4                                       // 00000000B024: 7E084104
	v_exp_f32_e32 v5, v5                                       // 00000000B028: 7E0A4105
	v_exp_f32_e32 v6, v6                                       // 00000000B02C: 7E0C4106
	v_exp_f32_e32 v7, v7                                       // 00000000B030: 7E0E4107
	v_add_f32_e64 v4, v4, 1.0                                  // 00000000B034: D1010004 0001E504
	v_add_f32_e64 v5, v5, 1.0                                  // 00000000B03C: D1010005 0001E505
	v_add_f32_e64 v6, v6, 1.0                                  // 00000000B044: D1010006 0001E506
	v_add_f32_e64 v7, v7, 1.0                                  // 00000000B04C: D1010007 0001E507
	v_rcp_f32_e32 v4, v4                                       // 00000000B054: 7E084504
	v_rcp_f32_e32 v5, v5                                       // 00000000B058: 7E0A4505
	v_rcp_f32_e32 v6, v6                                       // 00000000B05C: 7E0C4506
	v_rcp_f32_e32 v7, v7                                       // 00000000B060: 7E0E4507
	v_mul_f32_e32 v100, v100, v4                               // 00000000B064: 0AC80964
	v_mul_f32_e32 v101, v101, v5                               // 00000000B068: 0ACA0B65
	v_mul_f32_e32 v102, v102, v6                               // 00000000B06C: 0ACC0D66
	v_mul_f32_e32 v103, v103, v7                               // 00000000B070: 0ACE0F67
	v_mul_f32_e32 v100, v100, v136                             // 00000000B074: 0AC91164
	v_mul_f32_e32 v101, v101, v137                             // 00000000B078: 0ACB1365
	v_mul_f32_e32 v102, v102, v138                             // 00000000B07C: 0ACD1566
	v_mul_f32_e32 v103, v103, v139                             // 00000000B080: 0ACF1767
	v_pk_mul_f32 v[4:5], v[104:105], v[104:105]                // 00000000B084: D3B14004 1802D168
	v_pk_mul_f32 v[6:7], v[106:107], v[106:107]                // 00000000B08C: D3B14006 1802D56A
	v_pk_fma_f32 v[4:5], v[4:5], s[78:79], v[8:9]              // 00000000B094: D3B04004 1C209D04
	v_pk_fma_f32 v[6:7], v[6:7], s[78:79], v[8:9]              // 00000000B09C: D3B04006 1C209D06
	v_pk_mul_f32 v[4:5], v[4:5], v[104:105]                    // 00000000B0A4: D3B14004 1802D104
	v_pk_mul_f32 v[6:7], v[6:7], v[106:107]                    // 00000000B0AC: D3B14006 1802D506
	v_pk_mul_f32 v[4:5], v[4:5], s[60:61]                      // 00000000B0B4: D3B14004 18007904
	v_pk_mul_f32 v[6:7], v[6:7], s[60:61]                      // 00000000B0BC: D3B14006 18007906
	v_exp_f32_e32 v4, v4                                       // 00000000B0C4: 7E084104
	v_exp_f32_e32 v5, v5                                       // 00000000B0C8: 7E0A4105
	v_exp_f32_e32 v6, v6                                       // 00000000B0CC: 7E0C4106
	v_exp_f32_e32 v7, v7                                       // 00000000B0D0: 7E0E4107
	v_add_f32_e64 v4, v4, 1.0                                  // 00000000B0D4: D1010004 0001E504
	v_add_f32_e64 v5, v5, 1.0                                  // 00000000B0DC: D1010005 0001E505
	v_add_f32_e64 v6, v6, 1.0                                  // 00000000B0E4: D1010006 0001E506
	v_add_f32_e64 v7, v7, 1.0                                  // 00000000B0EC: D1010007 0001E507
	v_rcp_f32_e32 v4, v4                                       // 00000000B0F4: 7E084504
	v_rcp_f32_e32 v5, v5                                       // 00000000B0F8: 7E0A4505
	v_rcp_f32_e32 v6, v6                                       // 00000000B0FC: 7E0C4506
	v_rcp_f32_e32 v7, v7                                       // 00000000B100: 7E0E4507
	v_mul_f32_e32 v104, v104, v4                               // 00000000B104: 0AD00968
	v_mul_f32_e32 v105, v105, v5                               // 00000000B108: 0AD20B69
	v_mul_f32_e32 v106, v106, v6                               // 00000000B10C: 0AD40D6A
	v_mul_f32_e32 v107, v107, v7                               // 00000000B110: 0AD60F6B
	v_mul_f32_e32 v104, v104, v140                             // 00000000B114: 0AD11968
	v_mul_f32_e32 v105, v105, v141                             // 00000000B118: 0AD31B69
	v_mul_f32_e32 v106, v106, v142                             // 00000000B11C: 0AD51D6A
	v_mul_f32_e32 v107, v107, v143                             // 00000000B120: 0AD71F6B
	v_pk_mul_f32 v[4:5], v[108:109], v[108:109]                // 00000000B124: D3B14004 1802D96C
	v_pk_mul_f32 v[6:7], v[110:111], v[110:111]                // 00000000B12C: D3B14006 1802DD6E
	v_pk_fma_f32 v[4:5], v[4:5], s[78:79], v[8:9]              // 00000000B134: D3B04004 1C209D04
	v_pk_fma_f32 v[6:7], v[6:7], s[78:79], v[8:9]              // 00000000B13C: D3B04006 1C209D06
	v_pk_mul_f32 v[4:5], v[4:5], v[108:109]                    // 00000000B144: D3B14004 1802D904
	v_pk_mul_f32 v[6:7], v[6:7], v[110:111]                    // 00000000B14C: D3B14006 1802DD06
	v_pk_mul_f32 v[4:5], v[4:5], s[60:61]                      // 00000000B154: D3B14004 18007904
	v_pk_mul_f32 v[6:7], v[6:7], s[60:61]                      // 00000000B15C: D3B14006 18007906
	v_exp_f32_e32 v4, v4                                       // 00000000B164: 7E084104
	v_exp_f32_e32 v5, v5                                       // 00000000B168: 7E0A4105
	v_exp_f32_e32 v6, v6                                       // 00000000B16C: 7E0C4106
	v_exp_f32_e32 v7, v7                                       // 00000000B170: 7E0E4107
	v_add_f32_e64 v4, v4, 1.0                                  // 00000000B174: D1010004 0001E504
	v_add_f32_e64 v5, v5, 1.0                                  // 00000000B17C: D1010005 0001E505
	v_add_f32_e64 v6, v6, 1.0                                  // 00000000B184: D1010006 0001E506
	v_add_f32_e64 v7, v7, 1.0                                  // 00000000B18C: D1010007 0001E507
	v_rcp_f32_e32 v4, v4                                       // 00000000B194: 7E084504
	v_rcp_f32_e32 v5, v5                                       // 00000000B198: 7E0A4505
	v_rcp_f32_e32 v6, v6                                       // 00000000B19C: 7E0C4506
	v_rcp_f32_e32 v7, v7                                       // 00000000B1A0: 7E0E4507
	v_mul_f32_e32 v108, v108, v4                               // 00000000B1A4: 0AD8096C
	v_mul_f32_e32 v109, v109, v5                               // 00000000B1A8: 0ADA0B6D
	v_mul_f32_e32 v110, v110, v6                               // 00000000B1AC: 0ADC0D6E
	v_mul_f32_e32 v111, v111, v7                               // 00000000B1B0: 0ADE0F6F
	v_mul_f32_e32 v108, v108, v144                             // 00000000B1B4: 0AD9216C
	v_mul_f32_e32 v109, v109, v145                             // 00000000B1B8: 0ADB236D
	v_mul_f32_e32 v110, v110, v146                             // 00000000B1BC: 0ADD256E
	v_mul_f32_e32 v111, v111, v147                             // 00000000B1C0: 0ADF276F
	v_pk_mul_f32 v[4:5], v[112:113], v[112:113]                // 00000000B1C4: D3B14004 1802E170
	v_pk_mul_f32 v[6:7], v[114:115], v[114:115]                // 00000000B1CC: D3B14006 1802E572
	v_pk_fma_f32 v[4:5], v[4:5], s[78:79], v[8:9]              // 00000000B1D4: D3B04004 1C209D04
	v_pk_fma_f32 v[6:7], v[6:7], s[78:79], v[8:9]              // 00000000B1DC: D3B04006 1C209D06
	v_pk_mul_f32 v[4:5], v[4:5], v[112:113]                    // 00000000B1E4: D3B14004 1802E104
	v_pk_mul_f32 v[6:7], v[6:7], v[114:115]                    // 00000000B1EC: D3B14006 1802E506
	v_pk_mul_f32 v[4:5], v[4:5], s[60:61]                      // 00000000B1F4: D3B14004 18007904
	v_pk_mul_f32 v[6:7], v[6:7], s[60:61]                      // 00000000B1FC: D3B14006 18007906
	v_exp_f32_e32 v4, v4                                       // 00000000B204: 7E084104
	v_exp_f32_e32 v5, v5                                       // 00000000B208: 7E0A4105
	v_exp_f32_e32 v6, v6                                       // 00000000B20C: 7E0C4106
	v_exp_f32_e32 v7, v7                                       // 00000000B210: 7E0E4107
	v_add_f32_e64 v4, v4, 1.0                                  // 00000000B214: D1010004 0001E504
	v_add_f32_e64 v5, v5, 1.0                                  // 00000000B21C: D1010005 0001E505
	v_add_f32_e64 v6, v6, 1.0                                  // 00000000B224: D1010006 0001E506
	v_add_f32_e64 v7, v7, 1.0                                  // 00000000B22C: D1010007 0001E507
	v_rcp_f32_e32 v4, v4                                       // 00000000B234: 7E084504
	v_rcp_f32_e32 v5, v5                                       // 00000000B238: 7E0A4505
	v_rcp_f32_e32 v6, v6                                       // 00000000B23C: 7E0C4506
	v_rcp_f32_e32 v7, v7                                       // 00000000B240: 7E0E4507
	v_mul_f32_e32 v112, v112, v4                               // 00000000B244: 0AE00970
	v_mul_f32_e32 v113, v113, v5                               // 00000000B248: 0AE20B71
	v_mul_f32_e32 v114, v114, v6                               // 00000000B24C: 0AE40D72
	v_mul_f32_e32 v115, v115, v7                               // 00000000B250: 0AE60F73
	v_mul_f32_e32 v112, v112, v148                             // 00000000B254: 0AE12970
	v_mul_f32_e32 v113, v113, v149                             // 00000000B258: 0AE32B71
	v_mul_f32_e32 v114, v114, v150                             // 00000000B25C: 0AE52D72
	v_mul_f32_e32 v115, v115, v151                             // 00000000B260: 0AE72F73
	v_pk_mul_f32 v[4:5], v[116:117], v[116:117]                // 00000000B264: D3B14004 1802E974
	v_pk_mul_f32 v[6:7], v[118:119], v[118:119]                // 00000000B26C: D3B14006 1802ED76
	v_pk_fma_f32 v[4:5], v[4:5], s[78:79], v[8:9]              // 00000000B274: D3B04004 1C209D04
	v_pk_fma_f32 v[6:7], v[6:7], s[78:79], v[8:9]              // 00000000B27C: D3B04006 1C209D06
	v_pk_mul_f32 v[4:5], v[4:5], v[116:117]                    // 00000000B284: D3B14004 1802E904
	v_pk_mul_f32 v[6:7], v[6:7], v[118:119]                    // 00000000B28C: D3B14006 1802ED06
	v_pk_mul_f32 v[4:5], v[4:5], s[60:61]                      // 00000000B294: D3B14004 18007904
	v_pk_mul_f32 v[6:7], v[6:7], s[60:61]                      // 00000000B29C: D3B14006 18007906
	v_exp_f32_e32 v4, v4                                       // 00000000B2A4: 7E084104
	v_exp_f32_e32 v5, v5                                       // 00000000B2A8: 7E0A4105
	v_exp_f32_e32 v6, v6                                       // 00000000B2AC: 7E0C4106
	v_exp_f32_e32 v7, v7                                       // 00000000B2B0: 7E0E4107
	v_add_f32_e64 v4, v4, 1.0                                  // 00000000B2B4: D1010004 0001E504
	v_add_f32_e64 v5, v5, 1.0                                  // 00000000B2BC: D1010005 0001E505
	v_add_f32_e64 v6, v6, 1.0                                  // 00000000B2C4: D1010006 0001E506
	v_add_f32_e64 v7, v7, 1.0                                  // 00000000B2CC: D1010007 0001E507
	v_rcp_f32_e32 v4, v4                                       // 00000000B2D4: 7E084504
	v_rcp_f32_e32 v5, v5                                       // 00000000B2D8: 7E0A4505
	v_rcp_f32_e32 v6, v6                                       // 00000000B2DC: 7E0C4506
	v_rcp_f32_e32 v7, v7                                       // 00000000B2E0: 7E0E4507
	v_mul_f32_e32 v116, v116, v4                               // 00000000B2E4: 0AE80974
	v_mul_f32_e32 v117, v117, v5                               // 00000000B2E8: 0AEA0B75
	v_mul_f32_e32 v118, v118, v6                               // 00000000B2EC: 0AEC0D76
	v_mul_f32_e32 v119, v119, v7                               // 00000000B2F0: 0AEE0F77
	v_mul_f32_e32 v116, v116, v152                             // 00000000B2F4: 0AE93174
	v_mul_f32_e32 v117, v117, v153                             // 00000000B2F8: 0AEB3375
	v_mul_f32_e32 v118, v118, v154                             // 00000000B2FC: 0AED3576
	v_mul_f32_e32 v119, v119, v155                             // 00000000B300: 0AEF3777
	v_pk_mul_f32 v[4:5], v[120:121], v[120:121]                // 00000000B304: D3B14004 1802F178
	v_pk_mul_f32 v[6:7], v[122:123], v[122:123]                // 00000000B30C: D3B14006 1802F57A
	v_pk_fma_f32 v[4:5], v[4:5], s[78:79], v[8:9]              // 00000000B314: D3B04004 1C209D04
	v_pk_fma_f32 v[6:7], v[6:7], s[78:79], v[8:9]              // 00000000B31C: D3B04006 1C209D06
	v_pk_mul_f32 v[4:5], v[4:5], v[120:121]                    // 00000000B324: D3B14004 1802F104
	v_pk_mul_f32 v[6:7], v[6:7], v[122:123]                    // 00000000B32C: D3B14006 1802F506
	v_pk_mul_f32 v[4:5], v[4:5], s[60:61]                      // 00000000B334: D3B14004 18007904
	v_pk_mul_f32 v[6:7], v[6:7], s[60:61]                      // 00000000B33C: D3B14006 18007906
	v_exp_f32_e32 v4, v4                                       // 00000000B344: 7E084104
	v_exp_f32_e32 v5, v5                                       // 00000000B348: 7E0A4105
	v_exp_f32_e32 v6, v6                                       // 00000000B34C: 7E0C4106
	v_exp_f32_e32 v7, v7                                       // 00000000B350: 7E0E4107
	v_add_f32_e64 v4, v4, 1.0                                  // 00000000B354: D1010004 0001E504
	v_add_f32_e64 v5, v5, 1.0                                  // 00000000B35C: D1010005 0001E505
	v_add_f32_e64 v6, v6, 1.0                                  // 00000000B364: D1010006 0001E506
	v_add_f32_e64 v7, v7, 1.0                                  // 00000000B36C: D1010007 0001E507
	v_rcp_f32_e32 v4, v4                                       // 00000000B374: 7E084504
	v_rcp_f32_e32 v5, v5                                       // 00000000B378: 7E0A4505
	v_rcp_f32_e32 v6, v6                                       // 00000000B37C: 7E0C4506
	v_rcp_f32_e32 v7, v7                                       // 00000000B380: 7E0E4507
	v_mul_f32_e32 v120, v120, v4                               // 00000000B384: 0AF00978
	v_mul_f32_e32 v121, v121, v5                               // 00000000B388: 0AF20B79
	v_mul_f32_e32 v122, v122, v6                               // 00000000B38C: 0AF40D7A
	v_mul_f32_e32 v123, v123, v7                               // 00000000B390: 0AF60F7B
	v_mul_f32_e32 v120, v120, v156                             // 00000000B394: 0AF13978
	v_mul_f32_e32 v121, v121, v157                             // 00000000B398: 0AF33B79
	v_mul_f32_e32 v122, v122, v158                             // 00000000B39C: 0AF53D7A
	v_mul_f32_e32 v123, v123, v159                             // 00000000B3A0: 0AF73F7B
	s_branch label_238D                                        // 00000000B3A4: BF820120

000000000000b3a8 <label_226D>:
	v_mul_f32_e64 v4, -v88, s6                                 // 00000000B3A8: D1050004 20000D58
	v_mul_f32_e64 v5, -v89, s6                                 // 00000000B3B0: D1050005 20000D59
	v_mul_f32_e64 v6, -v90, s6                                 // 00000000B3B8: D1050006 20000D5A
	v_mul_f32_e64 v7, -v91, s6                                 // 00000000B3C0: D1050007 20000D5B
	v_exp_f32_e32 v4, v4                                       // 00000000B3C8: 7E084104
	v_exp_f32_e32 v5, v5                                       // 00000000B3CC: 7E0A4105
	v_exp_f32_e32 v6, v6                                       // 00000000B3D0: 7E0C4106
	v_exp_f32_e32 v7, v7                                       // 00000000B3D4: 7E0E4107
	v_add_f32_e64 v4, v4, 1.0                                  // 00000000B3D8: D1010004 0001E504
	v_add_f32_e64 v5, v5, 1.0                                  // 00000000B3E0: D1010005 0001E505
	v_add_f32_e64 v6, v6, 1.0                                  // 00000000B3E8: D1010006 0001E506
	v_add_f32_e64 v7, v7, 1.0                                  // 00000000B3F0: D1010007 0001E507
	v_rcp_f32_e32 v4, v4                                       // 00000000B3F8: 7E084504
	v_rcp_f32_e32 v5, v5                                       // 00000000B3FC: 7E0A4505
	v_rcp_f32_e32 v6, v6                                       // 00000000B400: 7E0C4506
	v_rcp_f32_e32 v7, v7                                       // 00000000B404: 7E0E4507
	v_mul_f32_e32 v88, v88, v4                                 // 00000000B408: 0AB00958
	v_mul_f32_e32 v89, v89, v5                                 // 00000000B40C: 0AB20B59
	v_mul_f32_e32 v90, v90, v6                                 // 00000000B410: 0AB40D5A
	v_mul_f32_e32 v91, v91, v7                                 // 00000000B414: 0AB60F5B
	v_mul_f32_e32 v88, v88, v124                               // 00000000B418: 0AB0F958
	v_mul_f32_e32 v89, v89, v125                               // 00000000B41C: 0AB2FB59
	v_mul_f32_e32 v90, v90, v126                               // 00000000B420: 0AB4FD5A
	v_mul_f32_e32 v91, v91, v127                               // 00000000B424: 0AB6FF5B
	v_mul_f32_e64 v4, -v92, s6                                 // 00000000B428: D1050004 20000D5C
	v_mul_f32_e64 v5, -v93, s6                                 // 00000000B430: D1050005 20000D5D
	v_mul_f32_e64 v6, -v94, s6                                 // 00000000B438: D1050006 20000D5E
	v_mul_f32_e64 v7, -v95, s6                                 // 00000000B440: D1050007 20000D5F
	v_exp_f32_e32 v4, v4                                       // 00000000B448: 7E084104
	v_exp_f32_e32 v5, v5                                       // 00000000B44C: 7E0A4105
	v_exp_f32_e32 v6, v6                                       // 00000000B450: 7E0C4106
	v_exp_f32_e32 v7, v7                                       // 00000000B454: 7E0E4107
	v_add_f32_e64 v4, v4, 1.0                                  // 00000000B458: D1010004 0001E504
	v_add_f32_e64 v5, v5, 1.0                                  // 00000000B460: D1010005 0001E505
	v_add_f32_e64 v6, v6, 1.0                                  // 00000000B468: D1010006 0001E506
	v_add_f32_e64 v7, v7, 1.0                                  // 00000000B470: D1010007 0001E507
	v_rcp_f32_e32 v4, v4                                       // 00000000B478: 7E084504
	v_rcp_f32_e32 v5, v5                                       // 00000000B47C: 7E0A4505
	v_rcp_f32_e32 v6, v6                                       // 00000000B480: 7E0C4506
	v_rcp_f32_e32 v7, v7                                       // 00000000B484: 7E0E4507
	v_mul_f32_e32 v92, v92, v4                                 // 00000000B488: 0AB8095C
	v_mul_f32_e32 v93, v93, v5                                 // 00000000B48C: 0ABA0B5D
	v_mul_f32_e32 v94, v94, v6                                 // 00000000B490: 0ABC0D5E
	v_mul_f32_e32 v95, v95, v7                                 // 00000000B494: 0ABE0F5F
	v_mul_f32_e32 v92, v92, v128                               // 00000000B498: 0AB9015C
	v_mul_f32_e32 v93, v93, v129                               // 00000000B49C: 0ABB035D
	v_mul_f32_e32 v94, v94, v130                               // 00000000B4A0: 0ABD055E
	v_mul_f32_e32 v95, v95, v131                               // 00000000B4A4: 0ABF075F
	v_mul_f32_e64 v4, -v96, s6                                 // 00000000B4A8: D1050004 20000D60
	v_mul_f32_e64 v5, -v97, s6                                 // 00000000B4B0: D1050005 20000D61
	v_mul_f32_e64 v6, -v98, s6                                 // 00000000B4B8: D1050006 20000D62
	v_mul_f32_e64 v7, -v99, s6                                 // 00000000B4C0: D1050007 20000D63
	v_exp_f32_e32 v4, v4                                       // 00000000B4C8: 7E084104
	v_exp_f32_e32 v5, v5                                       // 00000000B4CC: 7E0A4105
	v_exp_f32_e32 v6, v6                                       // 00000000B4D0: 7E0C4106
	v_exp_f32_e32 v7, v7                                       // 00000000B4D4: 7E0E4107
	v_add_f32_e64 v4, v4, 1.0                                  // 00000000B4D8: D1010004 0001E504
	v_add_f32_e64 v5, v5, 1.0                                  // 00000000B4E0: D1010005 0001E505
	v_add_f32_e64 v6, v6, 1.0                                  // 00000000B4E8: D1010006 0001E506
	v_add_f32_e64 v7, v7, 1.0                                  // 00000000B4F0: D1010007 0001E507
	v_rcp_f32_e32 v4, v4                                       // 00000000B4F8: 7E084504
	v_rcp_f32_e32 v5, v5                                       // 00000000B4FC: 7E0A4505
	v_rcp_f32_e32 v6, v6                                       // 00000000B500: 7E0C4506
	v_rcp_f32_e32 v7, v7                                       // 00000000B504: 7E0E4507
	v_mul_f32_e32 v96, v96, v4                                 // 00000000B508: 0AC00960
	v_mul_f32_e32 v97, v97, v5                                 // 00000000B50C: 0AC20B61
	v_mul_f32_e32 v98, v98, v6                                 // 00000000B510: 0AC40D62
	v_mul_f32_e32 v99, v99, v7                                 // 00000000B514: 0AC60F63
	v_mul_f32_e32 v96, v96, v132                               // 00000000B518: 0AC10960
	v_mul_f32_e32 v97, v97, v133                               // 00000000B51C: 0AC30B61
	v_mul_f32_e32 v98, v98, v134                               // 00000000B520: 0AC50D62
	v_mul_f32_e32 v99, v99, v135                               // 00000000B524: 0AC70F63
	v_mul_f32_e64 v4, -v100, s6                                // 00000000B528: D1050004 20000D64
	v_mul_f32_e64 v5, -v101, s6                                // 00000000B530: D1050005 20000D65
	v_mul_f32_e64 v6, -v102, s6                                // 00000000B538: D1050006 20000D66
	v_mul_f32_e64 v7, -v103, s6                                // 00000000B540: D1050007 20000D67
	v_exp_f32_e32 v4, v4                                       // 00000000B548: 7E084104
	v_exp_f32_e32 v5, v5                                       // 00000000B54C: 7E0A4105
	v_exp_f32_e32 v6, v6                                       // 00000000B550: 7E0C4106
	v_exp_f32_e32 v7, v7                                       // 00000000B554: 7E0E4107
	v_add_f32_e64 v4, v4, 1.0                                  // 00000000B558: D1010004 0001E504
	v_add_f32_e64 v5, v5, 1.0                                  // 00000000B560: D1010005 0001E505
	v_add_f32_e64 v6, v6, 1.0                                  // 00000000B568: D1010006 0001E506
	v_add_f32_e64 v7, v7, 1.0                                  // 00000000B570: D1010007 0001E507
	v_rcp_f32_e32 v4, v4                                       // 00000000B578: 7E084504
	v_rcp_f32_e32 v5, v5                                       // 00000000B57C: 7E0A4505
	v_rcp_f32_e32 v6, v6                                       // 00000000B580: 7E0C4506
	v_rcp_f32_e32 v7, v7                                       // 00000000B584: 7E0E4507
	v_mul_f32_e32 v100, v100, v4                               // 00000000B588: 0AC80964
	v_mul_f32_e32 v101, v101, v5                               // 00000000B58C: 0ACA0B65
	v_mul_f32_e32 v102, v102, v6                               // 00000000B590: 0ACC0D66
	v_mul_f32_e32 v103, v103, v7                               // 00000000B594: 0ACE0F67
	v_mul_f32_e32 v100, v100, v136                             // 00000000B598: 0AC91164
	v_mul_f32_e32 v101, v101, v137                             // 00000000B59C: 0ACB1365
	v_mul_f32_e32 v102, v102, v138                             // 00000000B5A0: 0ACD1566
	v_mul_f32_e32 v103, v103, v139                             // 00000000B5A4: 0ACF1767
	v_mul_f32_e64 v4, -v104, s6                                // 00000000B5A8: D1050004 20000D68
	v_mul_f32_e64 v5, -v105, s6                                // 00000000B5B0: D1050005 20000D69
	v_mul_f32_e64 v6, -v106, s6                                // 00000000B5B8: D1050006 20000D6A
	v_mul_f32_e64 v7, -v107, s6                                // 00000000B5C0: D1050007 20000D6B
	v_exp_f32_e32 v4, v4                                       // 00000000B5C8: 7E084104
	v_exp_f32_e32 v5, v5                                       // 00000000B5CC: 7E0A4105
	v_exp_f32_e32 v6, v6                                       // 00000000B5D0: 7E0C4106
	v_exp_f32_e32 v7, v7                                       // 00000000B5D4: 7E0E4107
	v_add_f32_e64 v4, v4, 1.0                                  // 00000000B5D8: D1010004 0001E504
	v_add_f32_e64 v5, v5, 1.0                                  // 00000000B5E0: D1010005 0001E505
	v_add_f32_e64 v6, v6, 1.0                                  // 00000000B5E8: D1010006 0001E506
	v_add_f32_e64 v7, v7, 1.0                                  // 00000000B5F0: D1010007 0001E507
	v_rcp_f32_e32 v4, v4                                       // 00000000B5F8: 7E084504
	v_rcp_f32_e32 v5, v5                                       // 00000000B5FC: 7E0A4505
	v_rcp_f32_e32 v6, v6                                       // 00000000B600: 7E0C4506
	v_rcp_f32_e32 v7, v7                                       // 00000000B604: 7E0E4507
	v_mul_f32_e32 v104, v104, v4                               // 00000000B608: 0AD00968
	v_mul_f32_e32 v105, v105, v5                               // 00000000B60C: 0AD20B69
	v_mul_f32_e32 v106, v106, v6                               // 00000000B610: 0AD40D6A
	v_mul_f32_e32 v107, v107, v7                               // 00000000B614: 0AD60F6B
	v_mul_f32_e32 v104, v104, v140                             // 00000000B618: 0AD11968
	v_mul_f32_e32 v105, v105, v141                             // 00000000B61C: 0AD31B69
	v_mul_f32_e32 v106, v106, v142                             // 00000000B620: 0AD51D6A
	v_mul_f32_e32 v107, v107, v143                             // 00000000B624: 0AD71F6B
	v_mul_f32_e64 v4, -v108, s6                                // 00000000B628: D1050004 20000D6C
	v_mul_f32_e64 v5, -v109, s6                                // 00000000B630: D1050005 20000D6D
	v_mul_f32_e64 v6, -v110, s6                                // 00000000B638: D1050006 20000D6E
	v_mul_f32_e64 v7, -v111, s6                                // 00000000B640: D1050007 20000D6F
	v_exp_f32_e32 v4, v4                                       // 00000000B648: 7E084104
	v_exp_f32_e32 v5, v5                                       // 00000000B64C: 7E0A4105
	v_exp_f32_e32 v6, v6                                       // 00000000B650: 7E0C4106
	v_exp_f32_e32 v7, v7                                       // 00000000B654: 7E0E4107
	v_add_f32_e64 v4, v4, 1.0                                  // 00000000B658: D1010004 0001E504
	v_add_f32_e64 v5, v5, 1.0                                  // 00000000B660: D1010005 0001E505
	v_add_f32_e64 v6, v6, 1.0                                  // 00000000B668: D1010006 0001E506
	v_add_f32_e64 v7, v7, 1.0                                  // 00000000B670: D1010007 0001E507
	v_rcp_f32_e32 v4, v4                                       // 00000000B678: 7E084504
	v_rcp_f32_e32 v5, v5                                       // 00000000B67C: 7E0A4505
	v_rcp_f32_e32 v6, v6                                       // 00000000B680: 7E0C4506
	v_rcp_f32_e32 v7, v7                                       // 00000000B684: 7E0E4507
	v_mul_f32_e32 v108, v108, v4                               // 00000000B688: 0AD8096C
	v_mul_f32_e32 v109, v109, v5                               // 00000000B68C: 0ADA0B6D
	v_mul_f32_e32 v110, v110, v6                               // 00000000B690: 0ADC0D6E
	v_mul_f32_e32 v111, v111, v7                               // 00000000B694: 0ADE0F6F
	v_mul_f32_e32 v108, v108, v144                             // 00000000B698: 0AD9216C
	v_mul_f32_e32 v109, v109, v145                             // 00000000B69C: 0ADB236D
	v_mul_f32_e32 v110, v110, v146                             // 00000000B6A0: 0ADD256E
	v_mul_f32_e32 v111, v111, v147                             // 00000000B6A4: 0ADF276F
	v_mul_f32_e64 v4, -v112, s6                                // 00000000B6A8: D1050004 20000D70
	v_mul_f32_e64 v5, -v113, s6                                // 00000000B6B0: D1050005 20000D71
	v_mul_f32_e64 v6, -v114, s6                                // 00000000B6B8: D1050006 20000D72
	v_mul_f32_e64 v7, -v115, s6                                // 00000000B6C0: D1050007 20000D73
	v_exp_f32_e32 v4, v4                                       // 00000000B6C8: 7E084104
	v_exp_f32_e32 v5, v5                                       // 00000000B6CC: 7E0A4105
	v_exp_f32_e32 v6, v6                                       // 00000000B6D0: 7E0C4106
	v_exp_f32_e32 v7, v7                                       // 00000000B6D4: 7E0E4107
	v_add_f32_e64 v4, v4, 1.0                                  // 00000000B6D8: D1010004 0001E504
	v_add_f32_e64 v5, v5, 1.0                                  // 00000000B6E0: D1010005 0001E505
	v_add_f32_e64 v6, v6, 1.0                                  // 00000000B6E8: D1010006 0001E506
	v_add_f32_e64 v7, v7, 1.0                                  // 00000000B6F0: D1010007 0001E507
	v_rcp_f32_e32 v4, v4                                       // 00000000B6F8: 7E084504
	v_rcp_f32_e32 v5, v5                                       // 00000000B6FC: 7E0A4505
	v_rcp_f32_e32 v6, v6                                       // 00000000B700: 7E0C4506
	v_rcp_f32_e32 v7, v7                                       // 00000000B704: 7E0E4507
	v_mul_f32_e32 v112, v112, v4                               // 00000000B708: 0AE00970
	v_mul_f32_e32 v113, v113, v5                               // 00000000B70C: 0AE20B71
	v_mul_f32_e32 v114, v114, v6                               // 00000000B710: 0AE40D72
	v_mul_f32_e32 v115, v115, v7                               // 00000000B714: 0AE60F73
	v_mul_f32_e32 v112, v112, v148                             // 00000000B718: 0AE12970
	v_mul_f32_e32 v113, v113, v149                             // 00000000B71C: 0AE32B71
	v_mul_f32_e32 v114, v114, v150                             // 00000000B720: 0AE52D72
	v_mul_f32_e32 v115, v115, v151                             // 00000000B724: 0AE72F73
	v_mul_f32_e64 v4, -v116, s6                                // 00000000B728: D1050004 20000D74
	v_mul_f32_e64 v5, -v117, s6                                // 00000000B730: D1050005 20000D75
	v_mul_f32_e64 v6, -v118, s6                                // 00000000B738: D1050006 20000D76
	v_mul_f32_e64 v7, -v119, s6                                // 00000000B740: D1050007 20000D77
	v_exp_f32_e32 v4, v4                                       // 00000000B748: 7E084104
	v_exp_f32_e32 v5, v5                                       // 00000000B74C: 7E0A4105
	v_exp_f32_e32 v6, v6                                       // 00000000B750: 7E0C4106
	v_exp_f32_e32 v7, v7                                       // 00000000B754: 7E0E4107
	v_add_f32_e64 v4, v4, 1.0                                  // 00000000B758: D1010004 0001E504
	v_add_f32_e64 v5, v5, 1.0                                  // 00000000B760: D1010005 0001E505
	v_add_f32_e64 v6, v6, 1.0                                  // 00000000B768: D1010006 0001E506
	v_add_f32_e64 v7, v7, 1.0                                  // 00000000B770: D1010007 0001E507
	v_rcp_f32_e32 v4, v4                                       // 00000000B778: 7E084504
	v_rcp_f32_e32 v5, v5                                       // 00000000B77C: 7E0A4505
	v_rcp_f32_e32 v6, v6                                       // 00000000B780: 7E0C4506
	v_rcp_f32_e32 v7, v7                                       // 00000000B784: 7E0E4507
	v_mul_f32_e32 v116, v116, v4                               // 00000000B788: 0AE80974
	v_mul_f32_e32 v117, v117, v5                               // 00000000B78C: 0AEA0B75
	v_mul_f32_e32 v118, v118, v6                               // 00000000B790: 0AEC0D76
	v_mul_f32_e32 v119, v119, v7                               // 00000000B794: 0AEE0F77
	v_mul_f32_e32 v116, v116, v152                             // 00000000B798: 0AE93174
	v_mul_f32_e32 v117, v117, v153                             // 00000000B79C: 0AEB3375
	v_mul_f32_e32 v118, v118, v154                             // 00000000B7A0: 0AED3576
	v_mul_f32_e32 v119, v119, v155                             // 00000000B7A4: 0AEF3777
	v_mul_f32_e64 v4, -v120, s6                                // 00000000B7A8: D1050004 20000D78
	v_mul_f32_e64 v5, -v121, s6                                // 00000000B7B0: D1050005 20000D79
	v_mul_f32_e64 v6, -v122, s6                                // 00000000B7B8: D1050006 20000D7A
	v_mul_f32_e64 v7, -v123, s6                                // 00000000B7C0: D1050007 20000D7B
	v_exp_f32_e32 v4, v4                                       // 00000000B7C8: 7E084104
	v_exp_f32_e32 v5, v5                                       // 00000000B7CC: 7E0A4105
	v_exp_f32_e32 v6, v6                                       // 00000000B7D0: 7E0C4106
	v_exp_f32_e32 v7, v7                                       // 00000000B7D4: 7E0E4107
	v_add_f32_e64 v4, v4, 1.0                                  // 00000000B7D8: D1010004 0001E504
	v_add_f32_e64 v5, v5, 1.0                                  // 00000000B7E0: D1010005 0001E505
	v_add_f32_e64 v6, v6, 1.0                                  // 00000000B7E8: D1010006 0001E506
	v_add_f32_e64 v7, v7, 1.0                                  // 00000000B7F0: D1010007 0001E507
	v_rcp_f32_e32 v4, v4                                       // 00000000B7F8: 7E084504
	v_rcp_f32_e32 v5, v5                                       // 00000000B7FC: 7E0A4505
	v_rcp_f32_e32 v6, v6                                       // 00000000B800: 7E0C4506
	v_rcp_f32_e32 v7, v7                                       // 00000000B804: 7E0E4507
	v_mul_f32_e32 v120, v120, v4                               // 00000000B808: 0AF00978
	v_mul_f32_e32 v121, v121, v5                               // 00000000B80C: 0AF20B79
	v_mul_f32_e32 v122, v122, v6                               // 00000000B810: 0AF40D7A
	v_mul_f32_e32 v123, v123, v7                               // 00000000B814: 0AF60F7B
	v_mul_f32_e32 v120, v120, v156                             // 00000000B818: 0AF13978
	v_mul_f32_e32 v121, v121, v157                             // 00000000B81C: 0AF33B79
	v_mul_f32_e32 v122, v122, v158                             // 00000000B820: 0AF53D7A
	v_mul_f32_e32 v123, v123, v159                             // 00000000B824: 0AF73F7B

000000000000b828 <label_238D>:
	v_cmp_u_f32_e64 s[46:47], v88, v88                         // 00000000B828: D048002E 0002B158
	v_add3_u32 v16, v88, v19, 1                                // 00000000B830: D1FF0010 02062758
	v_cndmask_b32_e64 v4, v16, v18, s[46:47]                   // 00000000B838: D1000004 00BA2510
	v_cmp_u_f32_e64 s[46:47], v89, v89                         // 00000000B840: D048002E 0002B359
	v_add3_u32 v16, v89, v19, 1                                // 00000000B848: D1FF0010 02062759
	v_cndmask_b32_e64 v5, v16, v18, s[46:47]                   // 00000000B850: D1000005 00BA2510
	v_perm_b32 v88, v5, v4, s52                                // 00000000B858: D1ED0058 00D20905
	v_cmp_u_f32_e64 s[46:47], v90, v90                         // 00000000B860: D048002E 0002B55A
	v_add3_u32 v16, v90, v19, 1                                // 00000000B868: D1FF0010 0206275A
	v_cndmask_b32_e64 v4, v16, v18, s[46:47]                   // 00000000B870: D1000004 00BA2510
	v_cmp_u_f32_e64 s[46:47], v91, v91                         // 00000000B878: D048002E 0002B75B
	v_add3_u32 v16, v91, v19, 1                                // 00000000B880: D1FF0010 0206275B
	v_cndmask_b32_e64 v5, v16, v18, s[46:47]                   // 00000000B888: D1000005 00BA2510
	v_perm_b32 v89, v5, v4, s52                                // 00000000B890: D1ED0059 00D20905
	v_cmp_u_f32_e64 s[46:47], v92, v92                         // 00000000B898: D048002E 0002B95C
	v_add3_u32 v16, v92, v19, 1                                // 00000000B8A0: D1FF0010 0206275C
	v_cndmask_b32_e64 v4, v16, v18, s[46:47]                   // 00000000B8A8: D1000004 00BA2510
	v_cmp_u_f32_e64 s[46:47], v93, v93                         // 00000000B8B0: D048002E 0002BB5D
	v_add3_u32 v16, v93, v19, 1                                // 00000000B8B8: D1FF0010 0206275D
	v_cndmask_b32_e64 v5, v16, v18, s[46:47]                   // 00000000B8C0: D1000005 00BA2510
	v_perm_b32 v90, v5, v4, s52                                // 00000000B8C8: D1ED005A 00D20905
	v_cmp_u_f32_e64 s[46:47], v94, v94                         // 00000000B8D0: D048002E 0002BD5E
	v_add3_u32 v16, v94, v19, 1                                // 00000000B8D8: D1FF0010 0206275E
	v_cndmask_b32_e64 v4, v16, v18, s[46:47]                   // 00000000B8E0: D1000004 00BA2510
	v_cmp_u_f32_e64 s[46:47], v95, v95                         // 00000000B8E8: D048002E 0002BF5F
	v_add3_u32 v16, v95, v19, 1                                // 00000000B8F0: D1FF0010 0206275F
	v_cndmask_b32_e64 v5, v16, v18, s[46:47]                   // 00000000B8F8: D1000005 00BA2510
	v_perm_b32 v91, v5, v4, s52                                // 00000000B900: D1ED005B 00D20905
	v_cmp_u_f32_e64 s[46:47], v96, v96                         // 00000000B908: D048002E 0002C160
	v_add3_u32 v16, v96, v19, 1                                // 00000000B910: D1FF0010 02062760
	v_cndmask_b32_e64 v4, v16, v18, s[46:47]                   // 00000000B918: D1000004 00BA2510
	v_cmp_u_f32_e64 s[46:47], v97, v97                         // 00000000B920: D048002E 0002C361
	v_add3_u32 v16, v97, v19, 1                                // 00000000B928: D1FF0010 02062761
	v_cndmask_b32_e64 v5, v16, v18, s[46:47]                   // 00000000B930: D1000005 00BA2510
	v_perm_b32 v92, v5, v4, s52                                // 00000000B938: D1ED005C 00D20905
	v_cmp_u_f32_e64 s[46:47], v98, v98                         // 00000000B940: D048002E 0002C562
	v_add3_u32 v16, v98, v19, 1                                // 00000000B948: D1FF0010 02062762
	v_cndmask_b32_e64 v4, v16, v18, s[46:47]                   // 00000000B950: D1000004 00BA2510
	v_cmp_u_f32_e64 s[46:47], v99, v99                         // 00000000B958: D048002E 0002C763
	v_add3_u32 v16, v99, v19, 1                                // 00000000B960: D1FF0010 02062763
	v_cndmask_b32_e64 v5, v16, v18, s[46:47]                   // 00000000B968: D1000005 00BA2510
	v_perm_b32 v93, v5, v4, s52                                // 00000000B970: D1ED005D 00D20905
	v_cmp_u_f32_e64 s[46:47], v100, v100                       // 00000000B978: D048002E 0002C964
	v_add3_u32 v16, v100, v19, 1                               // 00000000B980: D1FF0010 02062764
	v_cndmask_b32_e64 v4, v16, v18, s[46:47]                   // 00000000B988: D1000004 00BA2510
	v_cmp_u_f32_e64 s[46:47], v101, v101                       // 00000000B990: D048002E 0002CB65
	v_add3_u32 v16, v101, v19, 1                               // 00000000B998: D1FF0010 02062765
	v_cndmask_b32_e64 v5, v16, v18, s[46:47]                   // 00000000B9A0: D1000005 00BA2510
	v_perm_b32 v94, v5, v4, s52                                // 00000000B9A8: D1ED005E 00D20905
	v_cmp_u_f32_e64 s[46:47], v102, v102                       // 00000000B9B0: D048002E 0002CD66
	v_add3_u32 v16, v102, v19, 1                               // 00000000B9B8: D1FF0010 02062766
	v_cndmask_b32_e64 v4, v16, v18, s[46:47]                   // 00000000B9C0: D1000004 00BA2510
	v_cmp_u_f32_e64 s[46:47], v103, v103                       // 00000000B9C8: D048002E 0002CF67
	v_add3_u32 v16, v103, v19, 1                               // 00000000B9D0: D1FF0010 02062767
	v_cndmask_b32_e64 v5, v16, v18, s[46:47]                   // 00000000B9D8: D1000005 00BA2510
	v_perm_b32 v95, v5, v4, s52                                // 00000000B9E0: D1ED005F 00D20905
	v_cmp_u_f32_e64 s[46:47], v104, v104                       // 00000000B9E8: D048002E 0002D168
	v_add3_u32 v16, v104, v19, 1                               // 00000000B9F0: D1FF0010 02062768
	v_cndmask_b32_e64 v4, v16, v18, s[46:47]                   // 00000000B9F8: D1000004 00BA2510
	v_cmp_u_f32_e64 s[46:47], v105, v105                       // 00000000BA00: D048002E 0002D369
	v_add3_u32 v16, v105, v19, 1                               // 00000000BA08: D1FF0010 02062769
	v_cndmask_b32_e64 v5, v16, v18, s[46:47]                   // 00000000BA10: D1000005 00BA2510
	v_perm_b32 v96, v5, v4, s52                                // 00000000BA18: D1ED0060 00D20905
	v_cmp_u_f32_e64 s[46:47], v106, v106                       // 00000000BA20: D048002E 0002D56A
	v_add3_u32 v16, v106, v19, 1                               // 00000000BA28: D1FF0010 0206276A
	v_cndmask_b32_e64 v4, v16, v18, s[46:47]                   // 00000000BA30: D1000004 00BA2510
	v_cmp_u_f32_e64 s[46:47], v107, v107                       // 00000000BA38: D048002E 0002D76B
	v_add3_u32 v16, v107, v19, 1                               // 00000000BA40: D1FF0010 0206276B
	v_cndmask_b32_e64 v5, v16, v18, s[46:47]                   // 00000000BA48: D1000005 00BA2510
	v_perm_b32 v97, v5, v4, s52                                // 00000000BA50: D1ED0061 00D20905
	v_cmp_u_f32_e64 s[46:47], v108, v108                       // 00000000BA58: D048002E 0002D96C
	v_add3_u32 v16, v108, v19, 1                               // 00000000BA60: D1FF0010 0206276C
	v_cndmask_b32_e64 v4, v16, v18, s[46:47]                   // 00000000BA68: D1000004 00BA2510
	v_cmp_u_f32_e64 s[46:47], v109, v109                       // 00000000BA70: D048002E 0002DB6D
	v_add3_u32 v16, v109, v19, 1                               // 00000000BA78: D1FF0010 0206276D
	v_cndmask_b32_e64 v5, v16, v18, s[46:47]                   // 00000000BA80: D1000005 00BA2510
	v_perm_b32 v98, v5, v4, s52                                // 00000000BA88: D1ED0062 00D20905
	v_cmp_u_f32_e64 s[46:47], v110, v110                       // 00000000BA90: D048002E 0002DD6E
	v_add3_u32 v16, v110, v19, 1                               // 00000000BA98: D1FF0010 0206276E
	v_cndmask_b32_e64 v4, v16, v18, s[46:47]                   // 00000000BAA0: D1000004 00BA2510
	v_cmp_u_f32_e64 s[46:47], v111, v111                       // 00000000BAA8: D048002E 0002DF6F
	v_add3_u32 v16, v111, v19, 1                               // 00000000BAB0: D1FF0010 0206276F
	v_cndmask_b32_e64 v5, v16, v18, s[46:47]                   // 00000000BAB8: D1000005 00BA2510
	v_perm_b32 v99, v5, v4, s52                                // 00000000BAC0: D1ED0063 00D20905
	v_cmp_u_f32_e64 s[46:47], v112, v112                       // 00000000BAC8: D048002E 0002E170
	v_add3_u32 v16, v112, v19, 1                               // 00000000BAD0: D1FF0010 02062770
	v_cndmask_b32_e64 v4, v16, v18, s[46:47]                   // 00000000BAD8: D1000004 00BA2510
	v_cmp_u_f32_e64 s[46:47], v113, v113                       // 00000000BAE0: D048002E 0002E371
	v_add3_u32 v16, v113, v19, 1                               // 00000000BAE8: D1FF0010 02062771
	v_cndmask_b32_e64 v5, v16, v18, s[46:47]                   // 00000000BAF0: D1000005 00BA2510
	v_perm_b32 v100, v5, v4, s52                               // 00000000BAF8: D1ED0064 00D20905
	v_cmp_u_f32_e64 s[46:47], v114, v114                       // 00000000BB00: D048002E 0002E572
	v_add3_u32 v16, v114, v19, 1                               // 00000000BB08: D1FF0010 02062772
	v_cndmask_b32_e64 v4, v16, v18, s[46:47]                   // 00000000BB10: D1000004 00BA2510
	v_cmp_u_f32_e64 s[46:47], v115, v115                       // 00000000BB18: D048002E 0002E773
	v_add3_u32 v16, v115, v19, 1                               // 00000000BB20: D1FF0010 02062773
	v_cndmask_b32_e64 v5, v16, v18, s[46:47]                   // 00000000BB28: D1000005 00BA2510
	v_perm_b32 v101, v5, v4, s52                               // 00000000BB30: D1ED0065 00D20905
	v_cmp_u_f32_e64 s[46:47], v116, v116                       // 00000000BB38: D048002E 0002E974
	v_add3_u32 v16, v116, v19, 1                               // 00000000BB40: D1FF0010 02062774
	v_cndmask_b32_e64 v4, v16, v18, s[46:47]                   // 00000000BB48: D1000004 00BA2510
	v_cmp_u_f32_e64 s[46:47], v117, v117                       // 00000000BB50: D048002E 0002EB75
	v_add3_u32 v16, v117, v19, 1                               // 00000000BB58: D1FF0010 02062775
	v_cndmask_b32_e64 v5, v16, v18, s[46:47]                   // 00000000BB60: D1000005 00BA2510
	v_perm_b32 v102, v5, v4, s52                               // 00000000BB68: D1ED0066 00D20905
	v_cmp_u_f32_e64 s[46:47], v118, v118                       // 00000000BB70: D048002E 0002ED76
	v_add3_u32 v16, v118, v19, 1                               // 00000000BB78: D1FF0010 02062776
	v_cndmask_b32_e64 v4, v16, v18, s[46:47]                   // 00000000BB80: D1000004 00BA2510
	v_cmp_u_f32_e64 s[46:47], v119, v119                       // 00000000BB88: D048002E 0002EF77
	v_add3_u32 v16, v119, v19, 1                               // 00000000BB90: D1FF0010 02062777
	v_cndmask_b32_e64 v5, v16, v18, s[46:47]                   // 00000000BB98: D1000005 00BA2510
	v_perm_b32 v103, v5, v4, s52                               // 00000000BBA0: D1ED0067 00D20905
	v_cmp_u_f32_e64 s[46:47], v120, v120                       // 00000000BBA8: D048002E 0002F178
	v_add3_u32 v16, v120, v19, 1                               // 00000000BBB0: D1FF0010 02062778
	v_cndmask_b32_e64 v4, v16, v18, s[46:47]                   // 00000000BBB8: D1000004 00BA2510
	v_cmp_u_f32_e64 s[46:47], v121, v121                       // 00000000BBC0: D048002E 0002F379
	v_add3_u32 v16, v121, v19, 1                               // 00000000BBC8: D1FF0010 02062779
	v_cndmask_b32_e64 v5, v16, v18, s[46:47]                   // 00000000BBD0: D1000005 00BA2510
	v_perm_b32 v104, v5, v4, s52                               // 00000000BBD8: D1ED0068 00D20905
	v_cmp_u_f32_e64 s[46:47], v122, v122                       // 00000000BBE0: D048002E 0002F57A
	v_add3_u32 v16, v122, v19, 1                               // 00000000BBE8: D1FF0010 0206277A
	v_cndmask_b32_e64 v4, v16, v18, s[46:47]                   // 00000000BBF0: D1000004 00BA2510
	v_cmp_u_f32_e64 s[46:47], v123, v123                       // 00000000BBF8: D048002E 0002F77B
	v_add3_u32 v16, v123, v19, 1                               // 00000000BC00: D1FF0010 0206277B
	v_cndmask_b32_e64 v5, v16, v18, s[46:47]                   // 00000000BC08: D1000005 00BA2510
	v_perm_b32 v105, v5, v4, s52                               // 00000000BC10: D1ED0069 00D20905
	ds_write_b64 v20, v[88:89]                                 // 00000000BC18: D89A0000 00005814
	ds_write_b64 v20, v[90:91] offset:2176                     // 00000000BC20: D89A0880 00005A14
	ds_write_b64 v20, v[92:93] offset:4352                     // 00000000BC28: D89A1100 00005C14
	ds_write_b64 v20, v[94:95] offset:6528                     // 00000000BC30: D89A1980 00005E14
	ds_write_b64 v20, v[96:97] offset:8704                     // 00000000BC38: D89A2200 00006014
	ds_write_b64 v20, v[98:99] offset:10880                    // 00000000BC40: D89A2A80 00006214
	ds_write_b64 v20, v[100:101] offset:13056                  // 00000000BC48: D89A3300 00006414
	ds_write_b64 v20, v[102:103] offset:15232                  // 00000000BC50: D89A3B80 00006614
	ds_write_b64 v20, v[104:105] offset:17408                  // 00000000BC58: D89A4400 00006814
	v_lshrrev_b32_e32 v4, 5, v0                                // 00000000BC60: 20080085
	v_xor_b32_e32 v5, 1, v4                                    // 00000000BC64: 2A0A0881
	s_mul_i32 s60, s65, 2                                      // 00000000BC68: 923C8241
	s_cmp_eq_u32 s88, 0                                        // 00000000BC6C: BF068058
	s_cselect_b32 s61, 1, 4                                    // 00000000BC70: 853D8481
	s_mul_i32 s60, s61, s60                                    // 00000000BC74: 923C3C3D
	v_readlane_b32 s82, v3, 0                                  // 00000000BC78: D2890052 00010103
	s_lshr_b32 s61, s82, 24                                    // 00000000BC80: 8F3D9852
	s_and_b32 s82, s82, 0xffffff                               // 00000000BC84: 8652FF52 00FFFFFF
	s_mul_i32 s82, s82, s71                                    // 00000000BC8C: 92524752
	s_mul_i32 s61, s60, s61                                    // 00000000BC90: 923D3D3C
	s_add_u32 s82, s82, s61                                    // 00000000BC94: 80523D52
	v_mul_lo_u32 v6, v5, s82                                   // 00000000BC98: D2850006 0000A505
	v_readlane_b32 s82, v3, 1                                  // 00000000BCA0: D2890052 00010303
	s_lshr_b32 s61, s82, 24                                    // 00000000BCA8: 8F3D9852
	s_and_b32 s82, s82, 0xffffff                               // 00000000BCAC: 8652FF52 00FFFFFF
	s_mul_i32 s82, s82, s71                                    // 00000000BCB4: 92524752
	s_mul_i32 s61, s60, s61                                    // 00000000BCB8: 923D3D3C
	s_add_u32 s82, s82, s61                                    // 00000000BCBC: 80523D52
	v_mul_lo_u32 v7, v4, s82                                   // 00000000BCC0: D2850007 0000A504
	v_add_u32_e32 v66, v6, v7                                  // 00000000BCC8: 68840F06
	v_readlane_b32 s82, v3, 2                                  // 00000000BCCC: D2890052 00010503
	s_lshr_b32 s61, s82, 24                                    // 00000000BCD4: 8F3D9852
	s_and_b32 s82, s82, 0xffffff                               // 00000000BCD8: 8652FF52 00FFFFFF
	s_mul_i32 s82, s82, s71                                    // 00000000BCE0: 92524752
	s_mul_i32 s61, s60, s61                                    // 00000000BCE4: 923D3D3C
	s_add_u32 s82, s82, s61                                    // 00000000BCE8: 80523D52
	v_mul_lo_u32 v6, v5, s82                                   // 00000000BCEC: D2850006 0000A505
	v_readlane_b32 s82, v3, 3                                  // 00000000BCF4: D2890052 00010703
	s_lshr_b32 s61, s82, 24                                    // 00000000BCFC: 8F3D9852
	s_and_b32 s82, s82, 0xffffff                               // 00000000BD00: 8652FF52 00FFFFFF
	s_mul_i32 s82, s82, s71                                    // 00000000BD08: 92524752
	s_mul_i32 s61, s60, s61                                    // 00000000BD0C: 923D3D3C
	s_add_u32 s82, s82, s61                                    // 00000000BD10: 80523D52
	v_mul_lo_u32 v7, v4, s82                                   // 00000000BD14: D2850007 0000A504
	v_add_u32_e32 v67, v6, v7                                  // 00000000BD1C: 68860F06
	v_readlane_b32 s82, v3, 4                                  // 00000000BD20: D2890052 00010903
	s_lshr_b32 s61, s82, 24                                    // 00000000BD28: 8F3D9852
	s_and_b32 s82, s82, 0xffffff                               // 00000000BD2C: 8652FF52 00FFFFFF
	s_mul_i32 s82, s82, s71                                    // 00000000BD34: 92524752
	s_mul_i32 s61, s60, s61                                    // 00000000BD38: 923D3D3C
	s_add_u32 s82, s82, s61                                    // 00000000BD3C: 80523D52
	v_mul_lo_u32 v6, v5, s82                                   // 00000000BD40: D2850006 0000A505
	v_readlane_b32 s82, v3, 5                                  // 00000000BD48: D2890052 00010B03
	s_lshr_b32 s61, s82, 24                                    // 00000000BD50: 8F3D9852
	s_and_b32 s82, s82, 0xffffff                               // 00000000BD54: 8652FF52 00FFFFFF
	s_mul_i32 s82, s82, s71                                    // 00000000BD5C: 92524752
	s_mul_i32 s61, s60, s61                                    // 00000000BD60: 923D3D3C
	s_add_u32 s82, s82, s61                                    // 00000000BD64: 80523D52
	v_mul_lo_u32 v7, v4, s82                                   // 00000000BD68: D2850007 0000A504
	v_add_u32_e32 v68, v6, v7                                  // 00000000BD70: 68880F06
	v_readlane_b32 s82, v3, 6                                  // 00000000BD74: D2890052 00010D03
	s_lshr_b32 s61, s82, 24                                    // 00000000BD7C: 8F3D9852
	s_and_b32 s82, s82, 0xffffff                               // 00000000BD80: 8652FF52 00FFFFFF
	s_mul_i32 s82, s82, s71                                    // 00000000BD88: 92524752
	s_mul_i32 s61, s60, s61                                    // 00000000BD8C: 923D3D3C
	s_add_u32 s82, s82, s61                                    // 00000000BD90: 80523D52
	v_mul_lo_u32 v6, v5, s82                                   // 00000000BD94: D2850006 0000A505
	v_readlane_b32 s82, v3, 7                                  // 00000000BD9C: D2890052 00010F03
	s_lshr_b32 s61, s82, 24                                    // 00000000BDA4: 8F3D9852
	s_and_b32 s82, s82, 0xffffff                               // 00000000BDA8: 8652FF52 00FFFFFF
	s_mul_i32 s82, s82, s71                                    // 00000000BDB0: 92524752
	s_mul_i32 s61, s60, s61                                    // 00000000BDB4: 923D3D3C
	s_add_u32 s82, s82, s61                                    // 00000000BDB8: 80523D52
	v_mul_lo_u32 v7, v4, s82                                   // 00000000BDBC: D2850007 0000A504
	v_add_u32_e32 v69, v6, v7                                  // 00000000BDC4: 688A0F06
	v_readlane_b32 s82, v3, 8                                  // 00000000BDC8: D2890052 00011103
	s_lshr_b32 s61, s82, 24                                    // 00000000BDD0: 8F3D9852
	s_and_b32 s82, s82, 0xffffff                               // 00000000BDD4: 8652FF52 00FFFFFF
	s_mul_i32 s82, s82, s71                                    // 00000000BDDC: 92524752
	s_mul_i32 s61, s60, s61                                    // 00000000BDE0: 923D3D3C
	s_add_u32 s82, s82, s61                                    // 00000000BDE4: 80523D52
	v_mul_lo_u32 v6, v5, s82                                   // 00000000BDE8: D2850006 0000A505
	v_readlane_b32 s82, v3, 9                                  // 00000000BDF0: D2890052 00011303
	s_lshr_b32 s61, s82, 24                                    // 00000000BDF8: 8F3D9852
	s_and_b32 s82, s82, 0xffffff                               // 00000000BDFC: 8652FF52 00FFFFFF
	s_mul_i32 s82, s82, s71                                    // 00000000BE04: 92524752
	s_mul_i32 s61, s60, s61                                    // 00000000BE08: 923D3D3C
	s_add_u32 s82, s82, s61                                    // 00000000BE0C: 80523D52
	v_mul_lo_u32 v7, v4, s82                                   // 00000000BE10: D2850007 0000A504
	v_add_u32_e32 v70, v6, v7                                  // 00000000BE18: 688C0F06
	v_readlane_b32 s82, v3, 10                                 // 00000000BE1C: D2890052 00011503
	s_lshr_b32 s61, s82, 24                                    // 00000000BE24: 8F3D9852
	s_and_b32 s82, s82, 0xffffff                               // 00000000BE28: 8652FF52 00FFFFFF
	s_mul_i32 s82, s82, s71                                    // 00000000BE30: 92524752
	s_mul_i32 s61, s60, s61                                    // 00000000BE34: 923D3D3C
	s_add_u32 s82, s82, s61                                    // 00000000BE38: 80523D52
	v_mul_lo_u32 v6, v5, s82                                   // 00000000BE3C: D2850006 0000A505
	v_readlane_b32 s82, v3, 11                                 // 00000000BE44: D2890052 00011703
	s_lshr_b32 s61, s82, 24                                    // 00000000BE4C: 8F3D9852
	s_and_b32 s82, s82, 0xffffff                               // 00000000BE50: 8652FF52 00FFFFFF
	s_mul_i32 s82, s82, s71                                    // 00000000BE58: 92524752
	s_mul_i32 s61, s60, s61                                    // 00000000BE5C: 923D3D3C
	s_add_u32 s82, s82, s61                                    // 00000000BE60: 80523D52
	v_mul_lo_u32 v7, v4, s82                                   // 00000000BE64: D2850007 0000A504
	v_add_u32_e32 v71, v6, v7                                  // 00000000BE6C: 688E0F06
	v_readlane_b32 s82, v3, 12                                 // 00000000BE70: D2890052 00011903
	s_lshr_b32 s61, s82, 24                                    // 00000000BE78: 8F3D9852
	s_and_b32 s82, s82, 0xffffff                               // 00000000BE7C: 8652FF52 00FFFFFF
	s_mul_i32 s82, s82, s71                                    // 00000000BE84: 92524752
	s_mul_i32 s61, s60, s61                                    // 00000000BE88: 923D3D3C
	s_add_u32 s82, s82, s61                                    // 00000000BE8C: 80523D52
	v_mul_lo_u32 v6, v5, s82                                   // 00000000BE90: D2850006 0000A505
	v_readlane_b32 s82, v3, 13                                 // 00000000BE98: D2890052 00011B03
	s_lshr_b32 s61, s82, 24                                    // 00000000BEA0: 8F3D9852
	s_and_b32 s82, s82, 0xffffff                               // 00000000BEA4: 8652FF52 00FFFFFF
	s_mul_i32 s82, s82, s71                                    // 00000000BEAC: 92524752
	s_mul_i32 s61, s60, s61                                    // 00000000BEB0: 923D3D3C
	s_add_u32 s82, s82, s61                                    // 00000000BEB4: 80523D52
	v_mul_lo_u32 v7, v4, s82                                   // 00000000BEB8: D2850007 0000A504
	v_add_u32_e32 v72, v6, v7                                  // 00000000BEC0: 68900F06
	v_readlane_b32 s82, v3, 14                                 // 00000000BEC4: D2890052 00011D03
	s_lshr_b32 s61, s82, 24                                    // 00000000BECC: 8F3D9852
	s_and_b32 s82, s82, 0xffffff                               // 00000000BED0: 8652FF52 00FFFFFF
	s_mul_i32 s82, s82, s71                                    // 00000000BED8: 92524752
	s_mul_i32 s61, s60, s61                                    // 00000000BEDC: 923D3D3C
	s_add_u32 s82, s82, s61                                    // 00000000BEE0: 80523D52
	v_mul_lo_u32 v6, v5, s82                                   // 00000000BEE4: D2850006 0000A505
	v_readlane_b32 s82, v3, 15                                 // 00000000BEEC: D2890052 00011F03
	s_lshr_b32 s61, s82, 24                                    // 00000000BEF4: 8F3D9852
	s_and_b32 s82, s82, 0xffffff                               // 00000000BEF8: 8652FF52 00FFFFFF
	s_mul_i32 s82, s82, s71                                    // 00000000BF00: 92524752
	s_mul_i32 s61, s60, s61                                    // 00000000BF04: 923D3D3C
	s_add_u32 s82, s82, s61                                    // 00000000BF08: 80523D52
	v_mul_lo_u32 v7, v4, s82                                   // 00000000BF0C: D2850007 0000A504
	v_add_u32_e32 v73, v6, v7                                  // 00000000BF14: 68920F06
	v_readlane_b32 s82, v3, 16                                 // 00000000BF18: D2890052 00012103
	s_lshr_b32 s61, s82, 24                                    // 00000000BF20: 8F3D9852
	s_and_b32 s82, s82, 0xffffff                               // 00000000BF24: 8652FF52 00FFFFFF
	s_mul_i32 s82, s82, s71                                    // 00000000BF2C: 92524752
	s_mul_i32 s61, s60, s61                                    // 00000000BF30: 923D3D3C
	s_add_u32 s82, s82, s61                                    // 00000000BF34: 80523D52
	v_mul_lo_u32 v6, v5, s82                                   // 00000000BF38: D2850006 0000A505
	v_readlane_b32 s82, v3, 17                                 // 00000000BF40: D2890052 00012303
	s_lshr_b32 s61, s82, 24                                    // 00000000BF48: 8F3D9852
	s_and_b32 s82, s82, 0xffffff                               // 00000000BF4C: 8652FF52 00FFFFFF
	s_mul_i32 s82, s82, s71                                    // 00000000BF54: 92524752
	s_mul_i32 s61, s60, s61                                    // 00000000BF58: 923D3D3C
	s_add_u32 s82, s82, s61                                    // 00000000BF5C: 80523D52
	v_mul_lo_u32 v7, v4, s82                                   // 00000000BF60: D2850007 0000A504
	v_add_u32_e32 v74, v6, v7                                  // 00000000BF68: 68940F06
	v_readlane_b32 s82, v3, 18                                 // 00000000BF6C: D2890052 00012503
	s_lshr_b32 s61, s82, 24                                    // 00000000BF74: 8F3D9852
	s_and_b32 s82, s82, 0xffffff                               // 00000000BF78: 8652FF52 00FFFFFF
	s_mul_i32 s82, s82, s71                                    // 00000000BF80: 92524752
	s_mul_i32 s61, s60, s61                                    // 00000000BF84: 923D3D3C
	s_add_u32 s82, s82, s61                                    // 00000000BF88: 80523D52
	v_mul_lo_u32 v6, v5, s82                                   // 00000000BF8C: D2850006 0000A505
	v_readlane_b32 s82, v3, 19                                 // 00000000BF94: D2890052 00012703
	s_lshr_b32 s61, s82, 24                                    // 00000000BF9C: 8F3D9852
	s_and_b32 s82, s82, 0xffffff                               // 00000000BFA0: 8652FF52 00FFFFFF
	s_mul_i32 s82, s82, s71                                    // 00000000BFA8: 92524752
	s_mul_i32 s61, s60, s61                                    // 00000000BFAC: 923D3D3C
	s_add_u32 s82, s82, s61                                    // 00000000BFB0: 80523D52
	v_mul_lo_u32 v7, v4, s82                                   // 00000000BFB4: D2850007 0000A504
	v_add_u32_e32 v75, v6, v7                                  // 00000000BFBC: 68960F06
	v_readlane_b32 s82, v3, 20                                 // 00000000BFC0: D2890052 00012903
	s_lshr_b32 s61, s82, 24                                    // 00000000BFC8: 8F3D9852
	s_and_b32 s82, s82, 0xffffff                               // 00000000BFCC: 8652FF52 00FFFFFF
	s_mul_i32 s82, s82, s71                                    // 00000000BFD4: 92524752
	s_mul_i32 s61, s60, s61                                    // 00000000BFD8: 923D3D3C
	s_add_u32 s82, s82, s61                                    // 00000000BFDC: 80523D52
	v_mul_lo_u32 v6, v5, s82                                   // 00000000BFE0: D2850006 0000A505
	v_readlane_b32 s82, v3, 21                                 // 00000000BFE8: D2890052 00012B03
	s_lshr_b32 s61, s82, 24                                    // 00000000BFF0: 8F3D9852
	s_and_b32 s82, s82, 0xffffff                               // 00000000BFF4: 8652FF52 00FFFFFF
	s_mul_i32 s82, s82, s71                                    // 00000000BFFC: 92524752
	s_mul_i32 s61, s60, s61                                    // 00000000C000: 923D3D3C
	s_add_u32 s82, s82, s61                                    // 00000000C004: 80523D52
	v_mul_lo_u32 v7, v4, s82                                   // 00000000C008: D2850007 0000A504
	v_add_u32_e32 v76, v6, v7                                  // 00000000C010: 68980F06
	v_readlane_b32 s82, v3, 22                                 // 00000000C014: D2890052 00012D03
	s_lshr_b32 s61, s82, 24                                    // 00000000C01C: 8F3D9852
	s_and_b32 s82, s82, 0xffffff                               // 00000000C020: 8652FF52 00FFFFFF
	s_mul_i32 s82, s82, s71                                    // 00000000C028: 92524752
	s_mul_i32 s61, s60, s61                                    // 00000000C02C: 923D3D3C
	s_add_u32 s82, s82, s61                                    // 00000000C030: 80523D52
	v_mul_lo_u32 v6, v5, s82                                   // 00000000C034: D2850006 0000A505
	v_readlane_b32 s82, v3, 23                                 // 00000000C03C: D2890052 00012F03
	s_lshr_b32 s61, s82, 24                                    // 00000000C044: 8F3D9852
	s_and_b32 s82, s82, 0xffffff                               // 00000000C048: 8652FF52 00FFFFFF
	s_mul_i32 s82, s82, s71                                    // 00000000C050: 92524752
	s_mul_i32 s61, s60, s61                                    // 00000000C054: 923D3D3C
	s_add_u32 s82, s82, s61                                    // 00000000C058: 80523D52
	v_mul_lo_u32 v7, v4, s82                                   // 00000000C05C: D2850007 0000A504
	v_add_u32_e32 v77, v6, v7                                  // 00000000C064: 689A0F06
	v_readlane_b32 s82, v3, 24                                 // 00000000C068: D2890052 00013103
	s_lshr_b32 s61, s82, 24                                    // 00000000C070: 8F3D9852
	s_and_b32 s82, s82, 0xffffff                               // 00000000C074: 8652FF52 00FFFFFF
	s_mul_i32 s82, s82, s71                                    // 00000000C07C: 92524752
	s_mul_i32 s61, s60, s61                                    // 00000000C080: 923D3D3C
	s_add_u32 s82, s82, s61                                    // 00000000C084: 80523D52
	v_mul_lo_u32 v6, v5, s82                                   // 00000000C088: D2850006 0000A505
	v_readlane_b32 s82, v3, 25                                 // 00000000C090: D2890052 00013303
	s_lshr_b32 s61, s82, 24                                    // 00000000C098: 8F3D9852
	s_and_b32 s82, s82, 0xffffff                               // 00000000C09C: 8652FF52 00FFFFFF
	s_mul_i32 s82, s82, s71                                    // 00000000C0A4: 92524752
	s_mul_i32 s61, s60, s61                                    // 00000000C0A8: 923D3D3C
	s_add_u32 s82, s82, s61                                    // 00000000C0AC: 80523D52
	v_mul_lo_u32 v7, v4, s82                                   // 00000000C0B0: D2850007 0000A504
	v_add_u32_e32 v78, v6, v7                                  // 00000000C0B8: 689C0F06
	v_readlane_b32 s82, v3, 26                                 // 00000000C0BC: D2890052 00013503
	s_lshr_b32 s61, s82, 24                                    // 00000000C0C4: 8F3D9852
	s_and_b32 s82, s82, 0xffffff                               // 00000000C0C8: 8652FF52 00FFFFFF
	s_mul_i32 s82, s82, s71                                    // 00000000C0D0: 92524752
	s_mul_i32 s61, s60, s61                                    // 00000000C0D4: 923D3D3C
	s_add_u32 s82, s82, s61                                    // 00000000C0D8: 80523D52
	v_mul_lo_u32 v6, v5, s82                                   // 00000000C0DC: D2850006 0000A505
	v_readlane_b32 s82, v3, 27                                 // 00000000C0E4: D2890052 00013703
	s_lshr_b32 s61, s82, 24                                    // 00000000C0EC: 8F3D9852
	s_and_b32 s82, s82, 0xffffff                               // 00000000C0F0: 8652FF52 00FFFFFF
	s_mul_i32 s82, s82, s71                                    // 00000000C0F8: 92524752
	s_mul_i32 s61, s60, s61                                    // 00000000C0FC: 923D3D3C
	s_add_u32 s82, s82, s61                                    // 00000000C100: 80523D52
	v_mul_lo_u32 v7, v4, s82                                   // 00000000C104: D2850007 0000A504
	v_add_u32_e32 v79, v6, v7                                  // 00000000C10C: 689E0F06
	v_readlane_b32 s82, v3, 28                                 // 00000000C110: D2890052 00013903
	s_lshr_b32 s61, s82, 24                                    // 00000000C118: 8F3D9852
	s_and_b32 s82, s82, 0xffffff                               // 00000000C11C: 8652FF52 00FFFFFF
	s_mul_i32 s82, s82, s71                                    // 00000000C124: 92524752
	s_mul_i32 s61, s60, s61                                    // 00000000C128: 923D3D3C
	s_add_u32 s82, s82, s61                                    // 00000000C12C: 80523D52
	v_mul_lo_u32 v6, v5, s82                                   // 00000000C130: D2850006 0000A505
	v_readlane_b32 s82, v3, 29                                 // 00000000C138: D2890052 00013B03
	s_lshr_b32 s61, s82, 24                                    // 00000000C140: 8F3D9852
	s_and_b32 s82, s82, 0xffffff                               // 00000000C144: 8652FF52 00FFFFFF
	s_mul_i32 s82, s82, s71                                    // 00000000C14C: 92524752
	s_mul_i32 s61, s60, s61                                    // 00000000C150: 923D3D3C
	s_add_u32 s82, s82, s61                                    // 00000000C154: 80523D52
	v_mul_lo_u32 v7, v4, s82                                   // 00000000C158: D2850007 0000A504
	v_add_u32_e32 v80, v6, v7                                  // 00000000C160: 68A00F06
	v_readlane_b32 s82, v3, 30                                 // 00000000C164: D2890052 00013D03
	s_lshr_b32 s61, s82, 24                                    // 00000000C16C: 8F3D9852
	s_and_b32 s82, s82, 0xffffff                               // 00000000C170: 8652FF52 00FFFFFF
	s_mul_i32 s82, s82, s71                                    // 00000000C178: 92524752
	s_mul_i32 s61, s60, s61                                    // 00000000C17C: 923D3D3C
	s_add_u32 s82, s82, s61                                    // 00000000C180: 80523D52
	v_mul_lo_u32 v6, v5, s82                                   // 00000000C184: D2850006 0000A505
	v_readlane_b32 s82, v3, 31                                 // 00000000C18C: D2890052 00013F03
	s_lshr_b32 s61, s82, 24                                    // 00000000C194: 8F3D9852
	s_and_b32 s82, s82, 0xffffff                               // 00000000C198: 8652FF52 00FFFFFF
	s_mul_i32 s82, s82, s71                                    // 00000000C1A0: 92524752
	s_mul_i32 s61, s60, s61                                    // 00000000C1A4: 923D3D3C
	s_add_u32 s82, s82, s61                                    // 00000000C1A8: 80523D52
	v_mul_lo_u32 v7, v4, s82                                   // 00000000C1AC: D2850007 0000A504
	v_add_u32_e32 v81, v6, v7                                  // 00000000C1B4: 68A20F06
	v_readlane_b32 s82, v3, 32                                 // 00000000C1B8: D2890052 00014103
	s_lshr_b32 s61, s82, 24                                    // 00000000C1C0: 8F3D9852
	s_and_b32 s82, s82, 0xffffff                               // 00000000C1C4: 8652FF52 00FFFFFF
	s_mul_i32 s82, s82, s71                                    // 00000000C1CC: 92524752
	s_mul_i32 s61, s60, s61                                    // 00000000C1D0: 923D3D3C
	s_add_u32 s82, s82, s61                                    // 00000000C1D4: 80523D52
	v_mul_lo_u32 v6, v5, s82                                   // 00000000C1D8: D2850006 0000A505
	v_readlane_b32 s82, v3, 33                                 // 00000000C1E0: D2890052 00014303
	s_lshr_b32 s61, s82, 24                                    // 00000000C1E8: 8F3D9852
	s_and_b32 s82, s82, 0xffffff                               // 00000000C1EC: 8652FF52 00FFFFFF
	s_mul_i32 s82, s82, s71                                    // 00000000C1F4: 92524752
	s_mul_i32 s61, s60, s61                                    // 00000000C1F8: 923D3D3C
	s_add_u32 s82, s82, s61                                    // 00000000C1FC: 80523D52
	v_mul_lo_u32 v7, v4, s82                                   // 00000000C200: D2850007 0000A504
	v_add_u32_e32 v82, v6, v7                                  // 00000000C208: 68A40F06
	v_readlane_b32 s82, v3, 34                                 // 00000000C20C: D2890052 00014503
	s_lshr_b32 s61, s82, 24                                    // 00000000C214: 8F3D9852
	s_and_b32 s82, s82, 0xffffff                               // 00000000C218: 8652FF52 00FFFFFF
	s_mul_i32 s82, s82, s71                                    // 00000000C220: 92524752
	s_mul_i32 s61, s60, s61                                    // 00000000C224: 923D3D3C
	s_add_u32 s82, s82, s61                                    // 00000000C228: 80523D52
	v_mul_lo_u32 v6, v5, s82                                   // 00000000C22C: D2850006 0000A505
	v_readlane_b32 s82, v3, 35                                 // 00000000C234: D2890052 00014703
	s_lshr_b32 s61, s82, 24                                    // 00000000C23C: 8F3D9852
	s_and_b32 s82, s82, 0xffffff                               // 00000000C240: 8652FF52 00FFFFFF
	s_mul_i32 s82, s82, s71                                    // 00000000C248: 92524752
	s_mul_i32 s61, s60, s61                                    // 00000000C24C: 923D3D3C
	s_add_u32 s82, s82, s61                                    // 00000000C250: 80523D52
	v_mul_lo_u32 v7, v4, s82                                   // 00000000C254: D2850007 0000A504
	v_add_u32_e32 v83, v6, v7                                  // 00000000C25C: 68A60F06
	v_and_b32_e32 v4, 31, v0                                   // 00000000C260: 2608009F
	v_lshrrev_b32_e32 v4, 1, v4                                // 00000000C264: 20080881
	s_cmp_eq_u32 s88, 0                                        // 00000000C268: BF068058
	s_cselect_b32 s61, 2, 4                                    // 00000000C26C: 853D8482
	v_mul_lo_u32 v4, v4, s61                                   // 00000000C270: D2850004 00007B04
	v_and_b32_e64 v5, v0, 1                                    // 00000000C278: D1130005 00010300
	v_add_u32_e32 v4, v4, v5                                   // 00000000C280: 68080B04
	v_lshlrev_b32_e32 v4, 2, v4                                // 00000000C284: 24080882
	v_add_u32_e32 v66, v66, v4                                 // 00000000C288: 68840942
	v_add_u32_e32 v67, v67, v4                                 // 00000000C28C: 68860943
	v_add_u32_e32 v68, v68, v4                                 // 00000000C290: 68880944
	v_add_u32_e32 v69, v69, v4                                 // 00000000C294: 688A0945
	v_add_u32_e32 v70, v70, v4                                 // 00000000C298: 688C0946
	v_add_u32_e32 v71, v71, v4                                 // 00000000C29C: 688E0947
	v_add_u32_e32 v72, v72, v4                                 // 00000000C2A0: 68900948
	v_add_u32_e32 v73, v73, v4                                 // 00000000C2A4: 68920949
	v_add_u32_e32 v74, v74, v4                                 // 00000000C2A8: 6894094A
	v_add_u32_e32 v75, v75, v4                                 // 00000000C2AC: 6896094B
	v_add_u32_e32 v76, v76, v4                                 // 00000000C2B0: 6898094C
	v_add_u32_e32 v77, v77, v4                                 // 00000000C2B4: 689A094D
	v_add_u32_e32 v78, v78, v4                                 // 00000000C2B8: 689C094E
	v_add_u32_e32 v79, v79, v4                                 // 00000000C2BC: 689E094F
	v_add_u32_e32 v80, v80, v4                                 // 00000000C2C0: 68A00950
	v_add_u32_e32 v81, v81, v4                                 // 00000000C2C4: 68A20951
	v_add_u32_e32 v82, v82, v4                                 // 00000000C2C8: 68A40952
	v_add_u32_e32 v83, v83, v4                                 // 00000000C2CC: 68A60953
	s_waitcnt lgkmcnt(0)                                       // 00000000C2D0: BF8CC07F
	s_barrier                                                  // 00000000C2D4: BF8A0000
	ds_read_b32 v88, v21                                       // 00000000C2D8: D86C0000 58000015
	ds_read_b32 v89, v21 offset:64                             // 00000000C2E0: D86C0040 59000015
	ds_read_b32 v90, v21 offset:2176                           // 00000000C2E8: D86C0880 5A000015
	ds_read_b32 v91, v21 offset:2240                           // 00000000C2F0: D86C08C0 5B000015
	ds_read_b32 v92, v21 offset:4352                           // 00000000C2F8: D86C1100 5C000015
	ds_read_b32 v93, v21 offset:4416                           // 00000000C300: D86C1140 5D000015
	ds_read_b32 v94, v21 offset:6528                           // 00000000C308: D86C1980 5E000015
	ds_read_b32 v95, v21 offset:6592                           // 00000000C310: D86C19C0 5F000015
	ds_read_b32 v96, v21 offset:8704                           // 00000000C318: D86C2200 60000015
	ds_read_b32 v97, v21 offset:8768                           // 00000000C320: D86C2240 61000015
	ds_read_b32 v98, v21 offset:10880                          // 00000000C328: D86C2A80 62000015
	ds_read_b32 v99, v21 offset:10944                          // 00000000C330: D86C2AC0 63000015
	ds_read_b32 v100, v21 offset:13056                         // 00000000C338: D86C3300 64000015
	ds_read_b32 v101, v21 offset:13120                         // 00000000C340: D86C3340 65000015
	ds_read_b32 v102, v21 offset:15232                         // 00000000C348: D86C3B80 66000015
	ds_read_b32 v103, v21 offset:15296                         // 00000000C350: D86C3BC0 67000015
	ds_read_b32 v104, v21 offset:17408                         // 00000000C358: D86C4400 68000015
	ds_read_b32 v105, v21 offset:17472                         // 00000000C360: D86C4440 69000015
	s_waitcnt lgkmcnt(0)                                       // 00000000C368: BF8CC07F
	s_mov_b32 s36, -1                                          // 00000000C36C: BEA400C1
	s_mov_b32 s37, -1                                          // 00000000C370: BEA500C1
	v_mov_b32_e32 v7, 0                                        // 00000000C374: 7E0E0280
	s_or_b32 s9, s9, 0x40000                                   // 00000000C378: 8709FF09 00040000
	s_mov_b64 exec, s[36:37]                                   // 00000000C380: BEFE0124
	v_mov_b32_e32 v6, v66                                      // 00000000C384: 7E0C0342
	s_mov_b64 s[60:61], 0                                      // 00000000C388: BEBC0180
	v_readlane_b32 s82, v3, 0                                  // 00000000C38C: D2890052 00010103
	s_and_b32 s82, s82, 0xffffff                               // 00000000C394: 8652FF52 00FFFFFF
	s_cmp_lt_u32 s82, s66                                      // 00000000C39C: BF0A4252
	s_cselect_b32 s20, s36, s60                                // 00000000C3A0: 85143C24
	v_readlane_b32 s82, v3, 1                                  // 00000000C3A4: D2890052 00010303
	s_and_b32 s82, s82, 0xffffff                               // 00000000C3AC: 8652FF52 00FFFFFF
	s_cmp_lt_u32 s82, s66                                      // 00000000C3B4: BF0A4252
	s_cselect_b32 s21, s36, s60                                // 00000000C3B8: 85153C24
	s_mov_b64 exec, s[20:21]                                   // 00000000C3BC: BEFE0114
	buffer_store_dword v88, v6, s[8:11], 0 offen               // 00000000C3C0: E0701000 80025806
	s_mov_b64 exec, s[36:37]                                   // 00000000C3C8: BEFE0124
	v_mov_b32_e32 v6, v67                                      // 00000000C3CC: 7E0C0343
	s_mov_b64 s[60:61], 0                                      // 00000000C3D0: BEBC0180
	v_readlane_b32 s82, v3, 2                                  // 00000000C3D4: D2890052 00010503
	s_and_b32 s82, s82, 0xffffff                               // 00000000C3DC: 8652FF52 00FFFFFF
	s_cmp_lt_u32 s82, s66                                      // 00000000C3E4: BF0A4252
	s_cselect_b32 s20, s36, s60                                // 00000000C3E8: 85143C24
	v_readlane_b32 s82, v3, 3                                  // 00000000C3EC: D2890052 00010703
	s_and_b32 s82, s82, 0xffffff                               // 00000000C3F4: 8652FF52 00FFFFFF
	s_cmp_lt_u32 s82, s66                                      // 00000000C3FC: BF0A4252
	s_cselect_b32 s21, s36, s60                                // 00000000C400: 85153C24
	s_mov_b64 exec, s[20:21]                                   // 00000000C404: BEFE0114
	buffer_store_dword v89, v6, s[8:11], 0 offen               // 00000000C408: E0701000 80025906
	s_mov_b64 exec, s[36:37]                                   // 00000000C410: BEFE0124
	v_mov_b32_e32 v6, v68                                      // 00000000C414: 7E0C0344
	s_mov_b64 s[60:61], 0                                      // 00000000C418: BEBC0180
	v_readlane_b32 s82, v3, 4                                  // 00000000C41C: D2890052 00010903
	s_and_b32 s82, s82, 0xffffff                               // 00000000C424: 8652FF52 00FFFFFF
	s_cmp_lt_u32 s82, s66                                      // 00000000C42C: BF0A4252
	s_cselect_b32 s20, s36, s60                                // 00000000C430: 85143C24
	v_readlane_b32 s82, v3, 5                                  // 00000000C434: D2890052 00010B03
	s_and_b32 s82, s82, 0xffffff                               // 00000000C43C: 8652FF52 00FFFFFF
	s_cmp_lt_u32 s82, s66                                      // 00000000C444: BF0A4252
	s_cselect_b32 s21, s36, s60                                // 00000000C448: 85153C24
	s_mov_b64 exec, s[20:21]                                   // 00000000C44C: BEFE0114
	buffer_store_dword v90, v6, s[8:11], 0 offen               // 00000000C450: E0701000 80025A06
	s_mov_b64 exec, s[36:37]                                   // 00000000C458: BEFE0124
	v_mov_b32_e32 v6, v69                                      // 00000000C45C: 7E0C0345
	s_mov_b64 s[60:61], 0                                      // 00000000C460: BEBC0180
	v_readlane_b32 s82, v3, 6                                  // 00000000C464: D2890052 00010D03
	s_and_b32 s82, s82, 0xffffff                               // 00000000C46C: 8652FF52 00FFFFFF
	s_cmp_lt_u32 s82, s66                                      // 00000000C474: BF0A4252
	s_cselect_b32 s20, s36, s60                                // 00000000C478: 85143C24
	v_readlane_b32 s82, v3, 7                                  // 00000000C47C: D2890052 00010F03
	s_and_b32 s82, s82, 0xffffff                               // 00000000C484: 8652FF52 00FFFFFF
	s_cmp_lt_u32 s82, s66                                      // 00000000C48C: BF0A4252
	s_cselect_b32 s21, s36, s60                                // 00000000C490: 85153C24
	s_mov_b64 exec, s[20:21]                                   // 00000000C494: BEFE0114
	buffer_store_dword v91, v6, s[8:11], 0 offen               // 00000000C498: E0701000 80025B06
	s_mov_b64 exec, s[36:37]                                   // 00000000C4A0: BEFE0124
	v_mov_b32_e32 v6, v70                                      // 00000000C4A4: 7E0C0346
	s_mov_b64 s[60:61], 0                                      // 00000000C4A8: BEBC0180
	v_readlane_b32 s82, v3, 8                                  // 00000000C4AC: D2890052 00011103
	s_and_b32 s82, s82, 0xffffff                               // 00000000C4B4: 8652FF52 00FFFFFF
	s_cmp_lt_u32 s82, s66                                      // 00000000C4BC: BF0A4252
	s_cselect_b32 s20, s36, s60                                // 00000000C4C0: 85143C24
	v_readlane_b32 s82, v3, 9                                  // 00000000C4C4: D2890052 00011303
	s_and_b32 s82, s82, 0xffffff                               // 00000000C4CC: 8652FF52 00FFFFFF
	s_cmp_lt_u32 s82, s66                                      // 00000000C4D4: BF0A4252
	s_cselect_b32 s21, s36, s60                                // 00000000C4D8: 85153C24
	s_mov_b64 exec, s[20:21]                                   // 00000000C4DC: BEFE0114
	buffer_store_dword v92, v6, s[8:11], 0 offen               // 00000000C4E0: E0701000 80025C06
	s_mov_b64 exec, s[36:37]                                   // 00000000C4E8: BEFE0124
	v_mov_b32_e32 v6, v71                                      // 00000000C4EC: 7E0C0347
	s_mov_b64 s[60:61], 0                                      // 00000000C4F0: BEBC0180
	v_readlane_b32 s82, v3, 10                                 // 00000000C4F4: D2890052 00011503
	s_and_b32 s82, s82, 0xffffff                               // 00000000C4FC: 8652FF52 00FFFFFF
	s_cmp_lt_u32 s82, s66                                      // 00000000C504: BF0A4252
	s_cselect_b32 s20, s36, s60                                // 00000000C508: 85143C24
	v_readlane_b32 s82, v3, 11                                 // 00000000C50C: D2890052 00011703
	s_and_b32 s82, s82, 0xffffff                               // 00000000C514: 8652FF52 00FFFFFF
	s_cmp_lt_u32 s82, s66                                      // 00000000C51C: BF0A4252
	s_cselect_b32 s21, s36, s60                                // 00000000C520: 85153C24
	s_mov_b64 exec, s[20:21]                                   // 00000000C524: BEFE0114
	buffer_store_dword v93, v6, s[8:11], 0 offen               // 00000000C528: E0701000 80025D06
	s_mov_b64 exec, s[36:37]                                   // 00000000C530: BEFE0124
	v_mov_b32_e32 v6, v72                                      // 00000000C534: 7E0C0348
	s_mov_b64 s[60:61], 0                                      // 00000000C538: BEBC0180
	v_readlane_b32 s82, v3, 12                                 // 00000000C53C: D2890052 00011903
	s_and_b32 s82, s82, 0xffffff                               // 00000000C544: 8652FF52 00FFFFFF
	s_cmp_lt_u32 s82, s66                                      // 00000000C54C: BF0A4252
	s_cselect_b32 s20, s36, s60                                // 00000000C550: 85143C24
	v_readlane_b32 s82, v3, 13                                 // 00000000C554: D2890052 00011B03
	s_and_b32 s82, s82, 0xffffff                               // 00000000C55C: 8652FF52 00FFFFFF
	s_cmp_lt_u32 s82, s66                                      // 00000000C564: BF0A4252
	s_cselect_b32 s21, s36, s60                                // 00000000C568: 85153C24
	s_mov_b64 exec, s[20:21]                                   // 00000000C56C: BEFE0114
	buffer_store_dword v94, v6, s[8:11], 0 offen               // 00000000C570: E0701000 80025E06
	s_mov_b64 exec, s[36:37]                                   // 00000000C578: BEFE0124
	v_mov_b32_e32 v6, v73                                      // 00000000C57C: 7E0C0349
	s_mov_b64 s[60:61], 0                                      // 00000000C580: BEBC0180
	v_readlane_b32 s82, v3, 14                                 // 00000000C584: D2890052 00011D03
	s_and_b32 s82, s82, 0xffffff                               // 00000000C58C: 8652FF52 00FFFFFF
	s_cmp_lt_u32 s82, s66                                      // 00000000C594: BF0A4252
	s_cselect_b32 s20, s36, s60                                // 00000000C598: 85143C24
	v_readlane_b32 s82, v3, 15                                 // 00000000C59C: D2890052 00011F03
	s_and_b32 s82, s82, 0xffffff                               // 00000000C5A4: 8652FF52 00FFFFFF
	s_cmp_lt_u32 s82, s66                                      // 00000000C5AC: BF0A4252
	s_cselect_b32 s21, s36, s60                                // 00000000C5B0: 85153C24
	s_mov_b64 exec, s[20:21]                                   // 00000000C5B4: BEFE0114
	buffer_store_dword v95, v6, s[8:11], 0 offen               // 00000000C5B8: E0701000 80025F06
	s_mov_b64 exec, s[36:37]                                   // 00000000C5C0: BEFE0124
	v_mov_b32_e32 v6, v74                                      // 00000000C5C4: 7E0C034A
	s_mov_b64 s[60:61], 0                                      // 00000000C5C8: BEBC0180
	v_readlane_b32 s82, v3, 16                                 // 00000000C5CC: D2890052 00012103
	s_and_b32 s82, s82, 0xffffff                               // 00000000C5D4: 8652FF52 00FFFFFF
	s_cmp_lt_u32 s82, s66                                      // 00000000C5DC: BF0A4252
	s_cselect_b32 s20, s36, s60                                // 00000000C5E0: 85143C24
	v_readlane_b32 s82, v3, 17                                 // 00000000C5E4: D2890052 00012303
	s_and_b32 s82, s82, 0xffffff                               // 00000000C5EC: 8652FF52 00FFFFFF
	s_cmp_lt_u32 s82, s66                                      // 00000000C5F4: BF0A4252
	s_cselect_b32 s21, s36, s60                                // 00000000C5F8: 85153C24
	s_mov_b64 exec, s[20:21]                                   // 00000000C5FC: BEFE0114
	buffer_store_dword v96, v6, s[8:11], 0 offen               // 00000000C600: E0701000 80026006
	s_mov_b64 exec, s[36:37]                                   // 00000000C608: BEFE0124
	v_mov_b32_e32 v6, v75                                      // 00000000C60C: 7E0C034B
	s_mov_b64 s[60:61], 0                                      // 00000000C610: BEBC0180
	v_readlane_b32 s82, v3, 18                                 // 00000000C614: D2890052 00012503
	s_and_b32 s82, s82, 0xffffff                               // 00000000C61C: 8652FF52 00FFFFFF
	s_cmp_lt_u32 s82, s66                                      // 00000000C624: BF0A4252
	s_cselect_b32 s20, s36, s60                                // 00000000C628: 85143C24
	v_readlane_b32 s82, v3, 19                                 // 00000000C62C: D2890052 00012703
	s_and_b32 s82, s82, 0xffffff                               // 00000000C634: 8652FF52 00FFFFFF
	s_cmp_lt_u32 s82, s66                                      // 00000000C63C: BF0A4252
	s_cselect_b32 s21, s36, s60                                // 00000000C640: 85153C24
	s_mov_b64 exec, s[20:21]                                   // 00000000C644: BEFE0114
	buffer_store_dword v97, v6, s[8:11], 0 offen               // 00000000C648: E0701000 80026106
	s_mov_b64 exec, s[36:37]                                   // 00000000C650: BEFE0124
	v_mov_b32_e32 v6, v76                                      // 00000000C654: 7E0C034C
	s_mov_b64 s[60:61], 0                                      // 00000000C658: BEBC0180
	v_readlane_b32 s82, v3, 20                                 // 00000000C65C: D2890052 00012903
	s_and_b32 s82, s82, 0xffffff                               // 00000000C664: 8652FF52 00FFFFFF
	s_cmp_lt_u32 s82, s66                                      // 00000000C66C: BF0A4252
	s_cselect_b32 s20, s36, s60                                // 00000000C670: 85143C24
	v_readlane_b32 s82, v3, 21                                 // 00000000C674: D2890052 00012B03
	s_and_b32 s82, s82, 0xffffff                               // 00000000C67C: 8652FF52 00FFFFFF
	s_cmp_lt_u32 s82, s66                                      // 00000000C684: BF0A4252
	s_cselect_b32 s21, s36, s60                                // 00000000C688: 85153C24
	s_mov_b64 exec, s[20:21]                                   // 00000000C68C: BEFE0114
	buffer_store_dword v98, v6, s[8:11], 0 offen               // 00000000C690: E0701000 80026206
	s_mov_b64 exec, s[36:37]                                   // 00000000C698: BEFE0124
	v_mov_b32_e32 v6, v77                                      // 00000000C69C: 7E0C034D
	s_mov_b64 s[60:61], 0                                      // 00000000C6A0: BEBC0180
	v_readlane_b32 s82, v3, 22                                 // 00000000C6A4: D2890052 00012D03
	s_and_b32 s82, s82, 0xffffff                               // 00000000C6AC: 8652FF52 00FFFFFF
	s_cmp_lt_u32 s82, s66                                      // 00000000C6B4: BF0A4252
	s_cselect_b32 s20, s36, s60                                // 00000000C6B8: 85143C24
	v_readlane_b32 s82, v3, 23                                 // 00000000C6BC: D2890052 00012F03
	s_and_b32 s82, s82, 0xffffff                               // 00000000C6C4: 8652FF52 00FFFFFF
	s_cmp_lt_u32 s82, s66                                      // 00000000C6CC: BF0A4252
	s_cselect_b32 s21, s36, s60                                // 00000000C6D0: 85153C24
	s_mov_b64 exec, s[20:21]                                   // 00000000C6D4: BEFE0114
	buffer_store_dword v99, v6, s[8:11], 0 offen               // 00000000C6D8: E0701000 80026306
	s_mov_b64 exec, s[36:37]                                   // 00000000C6E0: BEFE0124
	v_mov_b32_e32 v6, v78                                      // 00000000C6E4: 7E0C034E
	s_mov_b64 s[60:61], 0                                      // 00000000C6E8: BEBC0180
	v_readlane_b32 s82, v3, 24                                 // 00000000C6EC: D2890052 00013103
	s_and_b32 s82, s82, 0xffffff                               // 00000000C6F4: 8652FF52 00FFFFFF
	s_cmp_lt_u32 s82, s66                                      // 00000000C6FC: BF0A4252
	s_cselect_b32 s20, s36, s60                                // 00000000C700: 85143C24
	v_readlane_b32 s82, v3, 25                                 // 00000000C704: D2890052 00013303
	s_and_b32 s82, s82, 0xffffff                               // 00000000C70C: 8652FF52 00FFFFFF
	s_cmp_lt_u32 s82, s66                                      // 00000000C714: BF0A4252
	s_cselect_b32 s21, s36, s60                                // 00000000C718: 85153C24
	s_mov_b64 exec, s[20:21]                                   // 00000000C71C: BEFE0114
	buffer_store_dword v100, v6, s[8:11], 0 offen              // 00000000C720: E0701000 80026406
	s_mov_b64 exec, s[36:37]                                   // 00000000C728: BEFE0124
	v_mov_b32_e32 v6, v79                                      // 00000000C72C: 7E0C034F
	s_mov_b64 s[60:61], 0                                      // 00000000C730: BEBC0180
	v_readlane_b32 s82, v3, 26                                 // 00000000C734: D2890052 00013503
	s_and_b32 s82, s82, 0xffffff                               // 00000000C73C: 8652FF52 00FFFFFF
	s_cmp_lt_u32 s82, s66                                      // 00000000C744: BF0A4252
	s_cselect_b32 s20, s36, s60                                // 00000000C748: 85143C24
	v_readlane_b32 s82, v3, 27                                 // 00000000C74C: D2890052 00013703
	s_and_b32 s82, s82, 0xffffff                               // 00000000C754: 8652FF52 00FFFFFF
	s_cmp_lt_u32 s82, s66                                      // 00000000C75C: BF0A4252
	s_cselect_b32 s21, s36, s60                                // 00000000C760: 85153C24
	s_mov_b64 exec, s[20:21]                                   // 00000000C764: BEFE0114
	buffer_store_dword v101, v6, s[8:11], 0 offen              // 00000000C768: E0701000 80026506
	s_mov_b64 exec, s[36:37]                                   // 00000000C770: BEFE0124
	v_mov_b32_e32 v6, v80                                      // 00000000C774: 7E0C0350
	s_mov_b64 s[60:61], 0                                      // 00000000C778: BEBC0180
	v_readlane_b32 s82, v3, 28                                 // 00000000C77C: D2890052 00013903
	s_and_b32 s82, s82, 0xffffff                               // 00000000C784: 8652FF52 00FFFFFF
	s_cmp_lt_u32 s82, s66                                      // 00000000C78C: BF0A4252
	s_cselect_b32 s20, s36, s60                                // 00000000C790: 85143C24
	v_readlane_b32 s82, v3, 29                                 // 00000000C794: D2890052 00013B03
	s_and_b32 s82, s82, 0xffffff                               // 00000000C79C: 8652FF52 00FFFFFF
	s_cmp_lt_u32 s82, s66                                      // 00000000C7A4: BF0A4252
	s_cselect_b32 s21, s36, s60                                // 00000000C7A8: 85153C24
	s_mov_b64 exec, s[20:21]                                   // 00000000C7AC: BEFE0114
	buffer_store_dword v102, v6, s[8:11], 0 offen              // 00000000C7B0: E0701000 80026606
	s_mov_b64 exec, s[36:37]                                   // 00000000C7B8: BEFE0124
	v_mov_b32_e32 v6, v81                                      // 00000000C7BC: 7E0C0351
	s_mov_b64 s[60:61], 0                                      // 00000000C7C0: BEBC0180
	v_readlane_b32 s82, v3, 30                                 // 00000000C7C4: D2890052 00013D03
	s_and_b32 s82, s82, 0xffffff                               // 00000000C7CC: 8652FF52 00FFFFFF
	s_cmp_lt_u32 s82, s66                                      // 00000000C7D4: BF0A4252
	s_cselect_b32 s20, s36, s60                                // 00000000C7D8: 85143C24
	v_readlane_b32 s82, v3, 31                                 // 00000000C7DC: D2890052 00013F03
	s_and_b32 s82, s82, 0xffffff                               // 00000000C7E4: 8652FF52 00FFFFFF
	s_cmp_lt_u32 s82, s66                                      // 00000000C7EC: BF0A4252
	s_cselect_b32 s21, s36, s60                                // 00000000C7F0: 85153C24
	s_mov_b64 exec, s[20:21]                                   // 00000000C7F4: BEFE0114
	buffer_store_dword v103, v6, s[8:11], 0 offen              // 00000000C7F8: E0701000 80026706
	s_mov_b64 exec, s[36:37]                                   // 00000000C800: BEFE0124
	v_mov_b32_e32 v6, v82                                      // 00000000C804: 7E0C0352
	s_mov_b64 s[60:61], 0                                      // 00000000C808: BEBC0180
	v_readlane_b32 s82, v3, 32                                 // 00000000C80C: D2890052 00014103
	s_and_b32 s82, s82, 0xffffff                               // 00000000C814: 8652FF52 00FFFFFF
	s_cmp_lt_u32 s82, s66                                      // 00000000C81C: BF0A4252
	s_cselect_b32 s20, s36, s60                                // 00000000C820: 85143C24
	v_readlane_b32 s82, v3, 33                                 // 00000000C824: D2890052 00014303
	s_and_b32 s82, s82, 0xffffff                               // 00000000C82C: 8652FF52 00FFFFFF
	s_cmp_lt_u32 s82, s66                                      // 00000000C834: BF0A4252
	s_cselect_b32 s21, s36, s60                                // 00000000C838: 85153C24
	s_mov_b64 exec, s[20:21]                                   // 00000000C83C: BEFE0114
	buffer_store_dword v104, v6, s[8:11], 0 offen              // 00000000C840: E0701000 80026806
	s_mov_b64 exec, s[36:37]                                   // 00000000C848: BEFE0124
	v_mov_b32_e32 v6, v83                                      // 00000000C84C: 7E0C0353
	s_mov_b64 s[60:61], 0                                      // 00000000C850: BEBC0180
	v_readlane_b32 s82, v3, 34                                 // 00000000C854: D2890052 00014503
	s_and_b32 s82, s82, 0xffffff                               // 00000000C85C: 8652FF52 00FFFFFF
	s_cmp_lt_u32 s82, s66                                      // 00000000C864: BF0A4252
	s_cselect_b32 s20, s36, s60                                // 00000000C868: 85143C24
	v_readlane_b32 s82, v3, 35                                 // 00000000C86C: D2890052 00014703
	s_and_b32 s82, s82, 0xffffff                               // 00000000C874: 8652FF52 00FFFFFF
	s_cmp_lt_u32 s82, s66                                      // 00000000C87C: BF0A4252
	s_cselect_b32 s21, s36, s60                                // 00000000C880: 85153C24
	s_mov_b64 exec, s[20:21]                                   // 00000000C884: BEFE0114
	buffer_store_dword v105, v6, s[8:11], 0 offen              // 00000000C888: E0701000 80026906
	s_mov_b64 exec, s[36:37]                                   // 00000000C890: BEFE0124
	s_branch label_2F47                                        // 00000000C894: BF82079E

000000000000c898 <label_27A9>:
	ds_write_b64 v20, v[88:89]                                 // 00000000C898: D89A0000 00005814
	ds_write_b64 v20, v[92:93] offset:2176                     // 00000000C8A0: D89A0880 00005C14
	ds_write_b64 v20, v[96:97] offset:4352                     // 00000000C8A8: D89A1100 00006014
	ds_write_b64 v20, v[100:101] offset:6528                   // 00000000C8B0: D89A1980 00006414
	ds_write_b64 v20, v[104:105] offset:8704                   // 00000000C8B8: D89A2200 00006814
	ds_write_b64 v20, v[108:109] offset:10880                  // 00000000C8C0: D89A2A80 00006C14
	ds_write_b64 v20, v[112:113] offset:13056                  // 00000000C8C8: D89A3300 00007014
	ds_write_b64 v20, v[116:117] offset:15232                  // 00000000C8D0: D89A3B80 00007414
	ds_write_b64 v20, v[120:121] offset:17408                  // 00000000C8D8: D89A4400 00007814
	v_lshrrev_b32_e32 v4, 5, v0                                // 00000000C8E0: 20080085
	v_xor_b32_e32 v5, 1, v4                                    // 00000000C8E4: 2A0A0881
	s_mul_i32 s60, s65, 2                                      // 00000000C8E8: 923C8241
	s_cmp_eq_u32 s88, 0                                        // 00000000C8EC: BF068058
	s_cselect_b32 s61, 1, 4                                    // 00000000C8F0: 853D8481
	s_mul_i32 s60, s61, s60                                    // 00000000C8F4: 923C3C3D
	v_readlane_b32 s82, v3, 0                                  // 00000000C8F8: D2890052 00010103
	s_lshr_b32 s61, s82, 24                                    // 00000000C900: 8F3D9852
	s_and_b32 s82, s82, 0xffffff                               // 00000000C904: 8652FF52 00FFFFFF
	s_mul_i32 s82, s82, s71                                    // 00000000C90C: 92524752
	s_mul_i32 s61, s60, s61                                    // 00000000C910: 923D3D3C
	s_add_u32 s82, s82, s61                                    // 00000000C914: 80523D52
	v_mul_lo_u32 v6, v5, s82                                   // 00000000C918: D2850006 0000A505
	v_readlane_b32 s82, v3, 1                                  // 00000000C920: D2890052 00010303
	s_lshr_b32 s61, s82, 24                                    // 00000000C928: 8F3D9852
	s_and_b32 s82, s82, 0xffffff                               // 00000000C92C: 8652FF52 00FFFFFF
	s_mul_i32 s82, s82, s71                                    // 00000000C934: 92524752
	s_mul_i32 s61, s60, s61                                    // 00000000C938: 923D3D3C
	s_add_u32 s82, s82, s61                                    // 00000000C93C: 80523D52
	v_mul_lo_u32 v7, v4, s82                                   // 00000000C940: D2850007 0000A504
	v_add_u32_e32 v66, v6, v7                                  // 00000000C948: 68840F06
	v_readlane_b32 s82, v3, 2                                  // 00000000C94C: D2890052 00010503
	s_lshr_b32 s61, s82, 24                                    // 00000000C954: 8F3D9852
	s_and_b32 s82, s82, 0xffffff                               // 00000000C958: 8652FF52 00FFFFFF
	s_mul_i32 s82, s82, s71                                    // 00000000C960: 92524752
	s_mul_i32 s61, s60, s61                                    // 00000000C964: 923D3D3C
	s_add_u32 s82, s82, s61                                    // 00000000C968: 80523D52
	v_mul_lo_u32 v6, v5, s82                                   // 00000000C96C: D2850006 0000A505
	v_readlane_b32 s82, v3, 3                                  // 00000000C974: D2890052 00010703
	s_lshr_b32 s61, s82, 24                                    // 00000000C97C: 8F3D9852
	s_and_b32 s82, s82, 0xffffff                               // 00000000C980: 8652FF52 00FFFFFF
	s_mul_i32 s82, s82, s71                                    // 00000000C988: 92524752
	s_mul_i32 s61, s60, s61                                    // 00000000C98C: 923D3D3C
	s_add_u32 s82, s82, s61                                    // 00000000C990: 80523D52
	v_mul_lo_u32 v7, v4, s82                                   // 00000000C994: D2850007 0000A504
	v_add_u32_e32 v67, v6, v7                                  // 00000000C99C: 68860F06
	v_readlane_b32 s82, v3, 4                                  // 00000000C9A0: D2890052 00010903
	s_lshr_b32 s61, s82, 24                                    // 00000000C9A8: 8F3D9852
	s_and_b32 s82, s82, 0xffffff                               // 00000000C9AC: 8652FF52 00FFFFFF
	s_mul_i32 s82, s82, s71                                    // 00000000C9B4: 92524752
	s_mul_i32 s61, s60, s61                                    // 00000000C9B8: 923D3D3C
	s_add_u32 s82, s82, s61                                    // 00000000C9BC: 80523D52
	v_mul_lo_u32 v6, v5, s82                                   // 00000000C9C0: D2850006 0000A505
	v_readlane_b32 s82, v3, 5                                  // 00000000C9C8: D2890052 00010B03
	s_lshr_b32 s61, s82, 24                                    // 00000000C9D0: 8F3D9852
	s_and_b32 s82, s82, 0xffffff                               // 00000000C9D4: 8652FF52 00FFFFFF
	s_mul_i32 s82, s82, s71                                    // 00000000C9DC: 92524752
	s_mul_i32 s61, s60, s61                                    // 00000000C9E0: 923D3D3C
	s_add_u32 s82, s82, s61                                    // 00000000C9E4: 80523D52
	v_mul_lo_u32 v7, v4, s82                                   // 00000000C9E8: D2850007 0000A504
	v_add_u32_e32 v68, v6, v7                                  // 00000000C9F0: 68880F06
	v_readlane_b32 s82, v3, 6                                  // 00000000C9F4: D2890052 00010D03
	s_lshr_b32 s61, s82, 24                                    // 00000000C9FC: 8F3D9852
	s_and_b32 s82, s82, 0xffffff                               // 00000000CA00: 8652FF52 00FFFFFF
	s_mul_i32 s82, s82, s71                                    // 00000000CA08: 92524752
	s_mul_i32 s61, s60, s61                                    // 00000000CA0C: 923D3D3C
	s_add_u32 s82, s82, s61                                    // 00000000CA10: 80523D52
	v_mul_lo_u32 v6, v5, s82                                   // 00000000CA14: D2850006 0000A505
	v_readlane_b32 s82, v3, 7                                  // 00000000CA1C: D2890052 00010F03
	s_lshr_b32 s61, s82, 24                                    // 00000000CA24: 8F3D9852
	s_and_b32 s82, s82, 0xffffff                               // 00000000CA28: 8652FF52 00FFFFFF
	s_mul_i32 s82, s82, s71                                    // 00000000CA30: 92524752
	s_mul_i32 s61, s60, s61                                    // 00000000CA34: 923D3D3C
	s_add_u32 s82, s82, s61                                    // 00000000CA38: 80523D52
	v_mul_lo_u32 v7, v4, s82                                   // 00000000CA3C: D2850007 0000A504
	v_add_u32_e32 v69, v6, v7                                  // 00000000CA44: 688A0F06
	v_readlane_b32 s82, v3, 8                                  // 00000000CA48: D2890052 00011103
	s_lshr_b32 s61, s82, 24                                    // 00000000CA50: 8F3D9852
	s_and_b32 s82, s82, 0xffffff                               // 00000000CA54: 8652FF52 00FFFFFF
	s_mul_i32 s82, s82, s71                                    // 00000000CA5C: 92524752
	s_mul_i32 s61, s60, s61                                    // 00000000CA60: 923D3D3C
	s_add_u32 s82, s82, s61                                    // 00000000CA64: 80523D52
	v_mul_lo_u32 v6, v5, s82                                   // 00000000CA68: D2850006 0000A505
	v_readlane_b32 s82, v3, 9                                  // 00000000CA70: D2890052 00011303
	s_lshr_b32 s61, s82, 24                                    // 00000000CA78: 8F3D9852
	s_and_b32 s82, s82, 0xffffff                               // 00000000CA7C: 8652FF52 00FFFFFF
	s_mul_i32 s82, s82, s71                                    // 00000000CA84: 92524752
	s_mul_i32 s61, s60, s61                                    // 00000000CA88: 923D3D3C
	s_add_u32 s82, s82, s61                                    // 00000000CA8C: 80523D52
	v_mul_lo_u32 v7, v4, s82                                   // 00000000CA90: D2850007 0000A504
	v_add_u32_e32 v70, v6, v7                                  // 00000000CA98: 688C0F06
	v_readlane_b32 s82, v3, 10                                 // 00000000CA9C: D2890052 00011503
	s_lshr_b32 s61, s82, 24                                    // 00000000CAA4: 8F3D9852
	s_and_b32 s82, s82, 0xffffff                               // 00000000CAA8: 8652FF52 00FFFFFF
	s_mul_i32 s82, s82, s71                                    // 00000000CAB0: 92524752
	s_mul_i32 s61, s60, s61                                    // 00000000CAB4: 923D3D3C
	s_add_u32 s82, s82, s61                                    // 00000000CAB8: 80523D52
	v_mul_lo_u32 v6, v5, s82                                   // 00000000CABC: D2850006 0000A505
	v_readlane_b32 s82, v3, 11                                 // 00000000CAC4: D2890052 00011703
	s_lshr_b32 s61, s82, 24                                    // 00000000CACC: 8F3D9852
	s_and_b32 s82, s82, 0xffffff                               // 00000000CAD0: 8652FF52 00FFFFFF
	s_mul_i32 s82, s82, s71                                    // 00000000CAD8: 92524752
	s_mul_i32 s61, s60, s61                                    // 00000000CADC: 923D3D3C
	s_add_u32 s82, s82, s61                                    // 00000000CAE0: 80523D52
	v_mul_lo_u32 v7, v4, s82                                   // 00000000CAE4: D2850007 0000A504
	v_add_u32_e32 v71, v6, v7                                  // 00000000CAEC: 688E0F06
	v_readlane_b32 s82, v3, 12                                 // 00000000CAF0: D2890052 00011903
	s_lshr_b32 s61, s82, 24                                    // 00000000CAF8: 8F3D9852
	s_and_b32 s82, s82, 0xffffff                               // 00000000CAFC: 8652FF52 00FFFFFF
	s_mul_i32 s82, s82, s71                                    // 00000000CB04: 92524752
	s_mul_i32 s61, s60, s61                                    // 00000000CB08: 923D3D3C
	s_add_u32 s82, s82, s61                                    // 00000000CB0C: 80523D52
	v_mul_lo_u32 v6, v5, s82                                   // 00000000CB10: D2850006 0000A505
	v_readlane_b32 s82, v3, 13                                 // 00000000CB18: D2890052 00011B03
	s_lshr_b32 s61, s82, 24                                    // 00000000CB20: 8F3D9852
	s_and_b32 s82, s82, 0xffffff                               // 00000000CB24: 8652FF52 00FFFFFF
	s_mul_i32 s82, s82, s71                                    // 00000000CB2C: 92524752
	s_mul_i32 s61, s60, s61                                    // 00000000CB30: 923D3D3C
	s_add_u32 s82, s82, s61                                    // 00000000CB34: 80523D52
	v_mul_lo_u32 v7, v4, s82                                   // 00000000CB38: D2850007 0000A504
	v_add_u32_e32 v72, v6, v7                                  // 00000000CB40: 68900F06
	v_readlane_b32 s82, v3, 14                                 // 00000000CB44: D2890052 00011D03
	s_lshr_b32 s61, s82, 24                                    // 00000000CB4C: 8F3D9852
	s_and_b32 s82, s82, 0xffffff                               // 00000000CB50: 8652FF52 00FFFFFF
	s_mul_i32 s82, s82, s71                                    // 00000000CB58: 92524752
	s_mul_i32 s61, s60, s61                                    // 00000000CB5C: 923D3D3C
	s_add_u32 s82, s82, s61                                    // 00000000CB60: 80523D52
	v_mul_lo_u32 v6, v5, s82                                   // 00000000CB64: D2850006 0000A505
	v_readlane_b32 s82, v3, 15                                 // 00000000CB6C: D2890052 00011F03
	s_lshr_b32 s61, s82, 24                                    // 00000000CB74: 8F3D9852
	s_and_b32 s82, s82, 0xffffff                               // 00000000CB78: 8652FF52 00FFFFFF
	s_mul_i32 s82, s82, s71                                    // 00000000CB80: 92524752
	s_mul_i32 s61, s60, s61                                    // 00000000CB84: 923D3D3C
	s_add_u32 s82, s82, s61                                    // 00000000CB88: 80523D52
	v_mul_lo_u32 v7, v4, s82                                   // 00000000CB8C: D2850007 0000A504
	v_add_u32_e32 v73, v6, v7                                  // 00000000CB94: 68920F06
	v_readlane_b32 s82, v3, 16                                 // 00000000CB98: D2890052 00012103
	s_lshr_b32 s61, s82, 24                                    // 00000000CBA0: 8F3D9852
	s_and_b32 s82, s82, 0xffffff                               // 00000000CBA4: 8652FF52 00FFFFFF
	s_mul_i32 s82, s82, s71                                    // 00000000CBAC: 92524752
	s_mul_i32 s61, s60, s61                                    // 00000000CBB0: 923D3D3C
	s_add_u32 s82, s82, s61                                    // 00000000CBB4: 80523D52
	v_mul_lo_u32 v6, v5, s82                                   // 00000000CBB8: D2850006 0000A505
	v_readlane_b32 s82, v3, 17                                 // 00000000CBC0: D2890052 00012303
	s_lshr_b32 s61, s82, 24                                    // 00000000CBC8: 8F3D9852
	s_and_b32 s82, s82, 0xffffff                               // 00000000CBCC: 8652FF52 00FFFFFF
	s_mul_i32 s82, s82, s71                                    // 00000000CBD4: 92524752
	s_mul_i32 s61, s60, s61                                    // 00000000CBD8: 923D3D3C
	s_add_u32 s82, s82, s61                                    // 00000000CBDC: 80523D52
	v_mul_lo_u32 v7, v4, s82                                   // 00000000CBE0: D2850007 0000A504
	v_add_u32_e32 v74, v6, v7                                  // 00000000CBE8: 68940F06
	v_readlane_b32 s82, v3, 18                                 // 00000000CBEC: D2890052 00012503
	s_lshr_b32 s61, s82, 24                                    // 00000000CBF4: 8F3D9852
	s_and_b32 s82, s82, 0xffffff                               // 00000000CBF8: 8652FF52 00FFFFFF
	s_mul_i32 s82, s82, s71                                    // 00000000CC00: 92524752
	s_mul_i32 s61, s60, s61                                    // 00000000CC04: 923D3D3C
	s_add_u32 s82, s82, s61                                    // 00000000CC08: 80523D52
	v_mul_lo_u32 v6, v5, s82                                   // 00000000CC0C: D2850006 0000A505
	v_readlane_b32 s82, v3, 19                                 // 00000000CC14: D2890052 00012703
	s_lshr_b32 s61, s82, 24                                    // 00000000CC1C: 8F3D9852
	s_and_b32 s82, s82, 0xffffff                               // 00000000CC20: 8652FF52 00FFFFFF
	s_mul_i32 s82, s82, s71                                    // 00000000CC28: 92524752
	s_mul_i32 s61, s60, s61                                    // 00000000CC2C: 923D3D3C
	s_add_u32 s82, s82, s61                                    // 00000000CC30: 80523D52
	v_mul_lo_u32 v7, v4, s82                                   // 00000000CC34: D2850007 0000A504
	v_add_u32_e32 v75, v6, v7                                  // 00000000CC3C: 68960F06
	v_readlane_b32 s82, v3, 20                                 // 00000000CC40: D2890052 00012903
	s_lshr_b32 s61, s82, 24                                    // 00000000CC48: 8F3D9852
	s_and_b32 s82, s82, 0xffffff                               // 00000000CC4C: 8652FF52 00FFFFFF
	s_mul_i32 s82, s82, s71                                    // 00000000CC54: 92524752
	s_mul_i32 s61, s60, s61                                    // 00000000CC58: 923D3D3C
	s_add_u32 s82, s82, s61                                    // 00000000CC5C: 80523D52
	v_mul_lo_u32 v6, v5, s82                                   // 00000000CC60: D2850006 0000A505
	v_readlane_b32 s82, v3, 21                                 // 00000000CC68: D2890052 00012B03
	s_lshr_b32 s61, s82, 24                                    // 00000000CC70: 8F3D9852
	s_and_b32 s82, s82, 0xffffff                               // 00000000CC74: 8652FF52 00FFFFFF
	s_mul_i32 s82, s82, s71                                    // 00000000CC7C: 92524752
	s_mul_i32 s61, s60, s61                                    // 00000000CC80: 923D3D3C
	s_add_u32 s82, s82, s61                                    // 00000000CC84: 80523D52
	v_mul_lo_u32 v7, v4, s82                                   // 00000000CC88: D2850007 0000A504
	v_add_u32_e32 v76, v6, v7                                  // 00000000CC90: 68980F06
	v_readlane_b32 s82, v3, 22                                 // 00000000CC94: D2890052 00012D03
	s_lshr_b32 s61, s82, 24                                    // 00000000CC9C: 8F3D9852
	s_and_b32 s82, s82, 0xffffff                               // 00000000CCA0: 8652FF52 00FFFFFF
	s_mul_i32 s82, s82, s71                                    // 00000000CCA8: 92524752
	s_mul_i32 s61, s60, s61                                    // 00000000CCAC: 923D3D3C
	s_add_u32 s82, s82, s61                                    // 00000000CCB0: 80523D52
	v_mul_lo_u32 v6, v5, s82                                   // 00000000CCB4: D2850006 0000A505
	v_readlane_b32 s82, v3, 23                                 // 00000000CCBC: D2890052 00012F03
	s_lshr_b32 s61, s82, 24                                    // 00000000CCC4: 8F3D9852
	s_and_b32 s82, s82, 0xffffff                               // 00000000CCC8: 8652FF52 00FFFFFF
	s_mul_i32 s82, s82, s71                                    // 00000000CCD0: 92524752
	s_mul_i32 s61, s60, s61                                    // 00000000CCD4: 923D3D3C
	s_add_u32 s82, s82, s61                                    // 00000000CCD8: 80523D52
	v_mul_lo_u32 v7, v4, s82                                   // 00000000CCDC: D2850007 0000A504
	v_add_u32_e32 v77, v6, v7                                  // 00000000CCE4: 689A0F06
	v_readlane_b32 s82, v3, 24                                 // 00000000CCE8: D2890052 00013103
	s_lshr_b32 s61, s82, 24                                    // 00000000CCF0: 8F3D9852
	s_and_b32 s82, s82, 0xffffff                               // 00000000CCF4: 8652FF52 00FFFFFF
	s_mul_i32 s82, s82, s71                                    // 00000000CCFC: 92524752
	s_mul_i32 s61, s60, s61                                    // 00000000CD00: 923D3D3C
	s_add_u32 s82, s82, s61                                    // 00000000CD04: 80523D52
	v_mul_lo_u32 v6, v5, s82                                   // 00000000CD08: D2850006 0000A505
	v_readlane_b32 s82, v3, 25                                 // 00000000CD10: D2890052 00013303
	s_lshr_b32 s61, s82, 24                                    // 00000000CD18: 8F3D9852
	s_and_b32 s82, s82, 0xffffff                               // 00000000CD1C: 8652FF52 00FFFFFF
	s_mul_i32 s82, s82, s71                                    // 00000000CD24: 92524752
	s_mul_i32 s61, s60, s61                                    // 00000000CD28: 923D3D3C
	s_add_u32 s82, s82, s61                                    // 00000000CD2C: 80523D52
	v_mul_lo_u32 v7, v4, s82                                   // 00000000CD30: D2850007 0000A504
	v_add_u32_e32 v78, v6, v7                                  // 00000000CD38: 689C0F06
	v_readlane_b32 s82, v3, 26                                 // 00000000CD3C: D2890052 00013503
	s_lshr_b32 s61, s82, 24                                    // 00000000CD44: 8F3D9852
	s_and_b32 s82, s82, 0xffffff                               // 00000000CD48: 8652FF52 00FFFFFF
	s_mul_i32 s82, s82, s71                                    // 00000000CD50: 92524752
	s_mul_i32 s61, s60, s61                                    // 00000000CD54: 923D3D3C
	s_add_u32 s82, s82, s61                                    // 00000000CD58: 80523D52
	v_mul_lo_u32 v6, v5, s82                                   // 00000000CD5C: D2850006 0000A505
	v_readlane_b32 s82, v3, 27                                 // 00000000CD64: D2890052 00013703
	s_lshr_b32 s61, s82, 24                                    // 00000000CD6C: 8F3D9852
	s_and_b32 s82, s82, 0xffffff                               // 00000000CD70: 8652FF52 00FFFFFF
	s_mul_i32 s82, s82, s71                                    // 00000000CD78: 92524752
	s_mul_i32 s61, s60, s61                                    // 00000000CD7C: 923D3D3C
	s_add_u32 s82, s82, s61                                    // 00000000CD80: 80523D52
	v_mul_lo_u32 v7, v4, s82                                   // 00000000CD84: D2850007 0000A504
	v_add_u32_e32 v79, v6, v7                                  // 00000000CD8C: 689E0F06
	v_readlane_b32 s82, v3, 28                                 // 00000000CD90: D2890052 00013903
	s_lshr_b32 s61, s82, 24                                    // 00000000CD98: 8F3D9852
	s_and_b32 s82, s82, 0xffffff                               // 00000000CD9C: 8652FF52 00FFFFFF
	s_mul_i32 s82, s82, s71                                    // 00000000CDA4: 92524752
	s_mul_i32 s61, s60, s61                                    // 00000000CDA8: 923D3D3C
	s_add_u32 s82, s82, s61                                    // 00000000CDAC: 80523D52
	v_mul_lo_u32 v6, v5, s82                                   // 00000000CDB0: D2850006 0000A505
	v_readlane_b32 s82, v3, 29                                 // 00000000CDB8: D2890052 00013B03
	s_lshr_b32 s61, s82, 24                                    // 00000000CDC0: 8F3D9852
	s_and_b32 s82, s82, 0xffffff                               // 00000000CDC4: 8652FF52 00FFFFFF
	s_mul_i32 s82, s82, s71                                    // 00000000CDCC: 92524752
	s_mul_i32 s61, s60, s61                                    // 00000000CDD0: 923D3D3C
	s_add_u32 s82, s82, s61                                    // 00000000CDD4: 80523D52
	v_mul_lo_u32 v7, v4, s82                                   // 00000000CDD8: D2850007 0000A504
	v_add_u32_e32 v80, v6, v7                                  // 00000000CDE0: 68A00F06
	v_readlane_b32 s82, v3, 30                                 // 00000000CDE4: D2890052 00013D03
	s_lshr_b32 s61, s82, 24                                    // 00000000CDEC: 8F3D9852
	s_and_b32 s82, s82, 0xffffff                               // 00000000CDF0: 8652FF52 00FFFFFF
	s_mul_i32 s82, s82, s71                                    // 00000000CDF8: 92524752
	s_mul_i32 s61, s60, s61                                    // 00000000CDFC: 923D3D3C
	s_add_u32 s82, s82, s61                                    // 00000000CE00: 80523D52
	v_mul_lo_u32 v6, v5, s82                                   // 00000000CE04: D2850006 0000A505
	v_readlane_b32 s82, v3, 31                                 // 00000000CE0C: D2890052 00013F03
	s_lshr_b32 s61, s82, 24                                    // 00000000CE14: 8F3D9852
	s_and_b32 s82, s82, 0xffffff                               // 00000000CE18: 8652FF52 00FFFFFF
	s_mul_i32 s82, s82, s71                                    // 00000000CE20: 92524752
	s_mul_i32 s61, s60, s61                                    // 00000000CE24: 923D3D3C
	s_add_u32 s82, s82, s61                                    // 00000000CE28: 80523D52
	v_mul_lo_u32 v7, v4, s82                                   // 00000000CE2C: D2850007 0000A504
	v_add_u32_e32 v81, v6, v7                                  // 00000000CE34: 68A20F06
	v_readlane_b32 s82, v3, 32                                 // 00000000CE38: D2890052 00014103
	s_lshr_b32 s61, s82, 24                                    // 00000000CE40: 8F3D9852
	s_and_b32 s82, s82, 0xffffff                               // 00000000CE44: 8652FF52 00FFFFFF
	s_mul_i32 s82, s82, s71                                    // 00000000CE4C: 92524752
	s_mul_i32 s61, s60, s61                                    // 00000000CE50: 923D3D3C
	s_add_u32 s82, s82, s61                                    // 00000000CE54: 80523D52
	v_mul_lo_u32 v6, v5, s82                                   // 00000000CE58: D2850006 0000A505
	v_readlane_b32 s82, v3, 33                                 // 00000000CE60: D2890052 00014303
	s_lshr_b32 s61, s82, 24                                    // 00000000CE68: 8F3D9852
	s_and_b32 s82, s82, 0xffffff                               // 00000000CE6C: 8652FF52 00FFFFFF
	s_mul_i32 s82, s82, s71                                    // 00000000CE74: 92524752
	s_mul_i32 s61, s60, s61                                    // 00000000CE78: 923D3D3C
	s_add_u32 s82, s82, s61                                    // 00000000CE7C: 80523D52
	v_mul_lo_u32 v7, v4, s82                                   // 00000000CE80: D2850007 0000A504
	v_add_u32_e32 v82, v6, v7                                  // 00000000CE88: 68A40F06
	v_readlane_b32 s82, v3, 34                                 // 00000000CE8C: D2890052 00014503
	s_lshr_b32 s61, s82, 24                                    // 00000000CE94: 8F3D9852
	s_and_b32 s82, s82, 0xffffff                               // 00000000CE98: 8652FF52 00FFFFFF
	s_mul_i32 s82, s82, s71                                    // 00000000CEA0: 92524752
	s_mul_i32 s61, s60, s61                                    // 00000000CEA4: 923D3D3C
	s_add_u32 s82, s82, s61                                    // 00000000CEA8: 80523D52
	v_mul_lo_u32 v6, v5, s82                                   // 00000000CEAC: D2850006 0000A505
	v_readlane_b32 s82, v3, 35                                 // 00000000CEB4: D2890052 00014703
	s_lshr_b32 s61, s82, 24                                    // 00000000CEBC: 8F3D9852
	s_and_b32 s82, s82, 0xffffff                               // 00000000CEC0: 8652FF52 00FFFFFF
	s_mul_i32 s82, s82, s71                                    // 00000000CEC8: 92524752
	s_mul_i32 s61, s60, s61                                    // 00000000CECC: 923D3D3C
	s_add_u32 s82, s82, s61                                    // 00000000CED0: 80523D52
	v_mul_lo_u32 v7, v4, s82                                   // 00000000CED4: D2850007 0000A504
	v_add_u32_e32 v83, v6, v7                                  // 00000000CEDC: 68A60F06
	v_and_b32_e32 v4, 31, v0                                   // 00000000CEE0: 2608009F
	v_lshrrev_b32_e32 v4, 1, v4                                // 00000000CEE4: 20080881
	s_cmp_eq_u32 s88, 0                                        // 00000000CEE8: BF068058
	s_cselect_b32 s61, 2, 4                                    // 00000000CEEC: 853D8482
	v_mul_lo_u32 v4, v4, s61                                   // 00000000CEF0: D2850004 00007B04
	v_and_b32_e64 v5, v0, 1                                    // 00000000CEF8: D1130005 00010300
	v_add_u32_e32 v4, v4, v5                                   // 00000000CF00: 68080B04
	v_lshlrev_b32_e32 v4, 2, v4                                // 00000000CF04: 24080882
	v_add_u32_e32 v66, v66, v4                                 // 00000000CF08: 68840942
	v_add_u32_e32 v67, v67, v4                                 // 00000000CF0C: 68860943
	v_add_u32_e32 v68, v68, v4                                 // 00000000CF10: 68880944
	v_add_u32_e32 v69, v69, v4                                 // 00000000CF14: 688A0945
	v_add_u32_e32 v70, v70, v4                                 // 00000000CF18: 688C0946
	v_add_u32_e32 v71, v71, v4                                 // 00000000CF1C: 688E0947
	v_add_u32_e32 v72, v72, v4                                 // 00000000CF20: 68900948
	v_add_u32_e32 v73, v73, v4                                 // 00000000CF24: 68920949
	v_add_u32_e32 v74, v74, v4                                 // 00000000CF28: 6894094A
	v_add_u32_e32 v75, v75, v4                                 // 00000000CF2C: 6896094B
	v_add_u32_e32 v76, v76, v4                                 // 00000000CF30: 6898094C
	v_add_u32_e32 v77, v77, v4                                 // 00000000CF34: 689A094D
	v_add_u32_e32 v78, v78, v4                                 // 00000000CF38: 689C094E
	v_add_u32_e32 v79, v79, v4                                 // 00000000CF3C: 689E094F
	v_add_u32_e32 v80, v80, v4                                 // 00000000CF40: 68A00950
	v_add_u32_e32 v81, v81, v4                                 // 00000000CF44: 68A20951
	v_add_u32_e32 v82, v82, v4                                 // 00000000CF48: 68A40952
	v_add_u32_e32 v83, v83, v4                                 // 00000000CF4C: 68A60953
	s_waitcnt lgkmcnt(0)                                       // 00000000CF50: BF8CC07F
	s_barrier                                                  // 00000000CF54: BF8A0000
	ds_read_b32 v88, v21                                       // 00000000CF58: D86C0000 58000015
	ds_read_b32 v89, v21 offset:64                             // 00000000CF60: D86C0040 59000015
	ds_read_b32 v92, v21 offset:2176                           // 00000000CF68: D86C0880 5C000015
	ds_read_b32 v93, v21 offset:2240                           // 00000000CF70: D86C08C0 5D000015
	ds_read_b32 v96, v21 offset:4352                           // 00000000CF78: D86C1100 60000015
	ds_read_b32 v97, v21 offset:4416                           // 00000000CF80: D86C1140 61000015
	ds_read_b32 v100, v21 offset:6528                          // 00000000CF88: D86C1980 64000015
	ds_read_b32 v101, v21 offset:6592                          // 00000000CF90: D86C19C0 65000015
	ds_read_b32 v104, v21 offset:8704                          // 00000000CF98: D86C2200 68000015
	ds_read_b32 v105, v21 offset:8768                          // 00000000CFA0: D86C2240 69000015
	ds_read_b32 v108, v21 offset:10880                         // 00000000CFA8: D86C2A80 6C000015
	ds_read_b32 v109, v21 offset:10944                         // 00000000CFB0: D86C2AC0 6D000015
	ds_read_b32 v112, v21 offset:13056                         // 00000000CFB8: D86C3300 70000015
	ds_read_b32 v113, v21 offset:13120                         // 00000000CFC0: D86C3340 71000015
	ds_read_b32 v116, v21 offset:15232                         // 00000000CFC8: D86C3B80 74000015
	ds_read_b32 v117, v21 offset:15296                         // 00000000CFD0: D86C3BC0 75000015
	ds_read_b32 v120, v21 offset:17408                         // 00000000CFD8: D86C4400 78000015
	ds_read_b32 v121, v21 offset:17472                         // 00000000CFE0: D86C4440 79000015
	s_waitcnt lgkmcnt(0)                                       // 00000000CFE8: BF8CC07F
	s_mov_b32 s36, -1                                          // 00000000CFEC: BEA400C1
	s_mov_b32 s37, -1                                          // 00000000CFF0: BEA500C1
	v_mov_b32_e32 v7, 0                                        // 00000000CFF4: 7E0E0280
	s_mov_b64 exec, s[36:37]                                   // 00000000CFF8: BEFE0124
	v_mov_b32_e32 v6, v66                                      // 00000000CFFC: 7E0C0342
	s_mov_b64 s[60:61], 0                                      // 00000000D000: BEBC0180
	v_readlane_b32 s82, v3, 0                                  // 00000000D004: D2890052 00010103
	s_and_b32 s82, s82, 0xffffff                               // 00000000D00C: 8652FF52 00FFFFFF
	s_cmp_lt_u32 s82, s66                                      // 00000000D014: BF0A4252
	s_cselect_b32 s20, s36, s60                                // 00000000D018: 85143C24
	v_readlane_b32 s82, v3, 1                                  // 00000000D01C: D2890052 00010303
	s_and_b32 s82, s82, 0xffffff                               // 00000000D024: 8652FF52 00FFFFFF
	s_cmp_lt_u32 s82, s66                                      // 00000000D02C: BF0A4252
	s_cselect_b32 s21, s36, s60                                // 00000000D030: 85153C24
	s_mov_b64 exec, s[20:21]                                   // 00000000D034: BEFE0114
	global_atomic_add_f32 v6, v88, s[8:9]                      // 00000000D038: DD348000 00085806
	s_mov_b64 exec, s[36:37]                                   // 00000000D040: BEFE0124
	v_mov_b32_e32 v6, v67                                      // 00000000D044: 7E0C0343
	s_mov_b64 s[60:61], 0                                      // 00000000D048: BEBC0180
	v_readlane_b32 s82, v3, 2                                  // 00000000D04C: D2890052 00010503
	s_and_b32 s82, s82, 0xffffff                               // 00000000D054: 8652FF52 00FFFFFF
	s_cmp_lt_u32 s82, s66                                      // 00000000D05C: BF0A4252
	s_cselect_b32 s20, s36, s60                                // 00000000D060: 85143C24
	v_readlane_b32 s82, v3, 3                                  // 00000000D064: D2890052 00010703
	s_and_b32 s82, s82, 0xffffff                               // 00000000D06C: 8652FF52 00FFFFFF
	s_cmp_lt_u32 s82, s66                                      // 00000000D074: BF0A4252
	s_cselect_b32 s21, s36, s60                                // 00000000D078: 85153C24
	s_mov_b64 exec, s[20:21]                                   // 00000000D07C: BEFE0114
	global_atomic_add_f32 v6, v89, s[8:9]                      // 00000000D080: DD348000 00085906
	s_mov_b64 exec, s[36:37]                                   // 00000000D088: BEFE0124
	v_mov_b32_e32 v6, v68                                      // 00000000D08C: 7E0C0344
	s_mov_b64 s[60:61], 0                                      // 00000000D090: BEBC0180
	v_readlane_b32 s82, v3, 4                                  // 00000000D094: D2890052 00010903
	s_and_b32 s82, s82, 0xffffff                               // 00000000D09C: 8652FF52 00FFFFFF
	s_cmp_lt_u32 s82, s66                                      // 00000000D0A4: BF0A4252
	s_cselect_b32 s20, s36, s60                                // 00000000D0A8: 85143C24
	v_readlane_b32 s82, v3, 5                                  // 00000000D0AC: D2890052 00010B03
	s_and_b32 s82, s82, 0xffffff                               // 00000000D0B4: 8652FF52 00FFFFFF
	s_cmp_lt_u32 s82, s66                                      // 00000000D0BC: BF0A4252
	s_cselect_b32 s21, s36, s60                                // 00000000D0C0: 85153C24
	s_mov_b64 exec, s[20:21]                                   // 00000000D0C4: BEFE0114
	global_atomic_add_f32 v6, v92, s[8:9]                      // 00000000D0C8: DD348000 00085C06
	s_mov_b64 exec, s[36:37]                                   // 00000000D0D0: BEFE0124
	v_mov_b32_e32 v6, v69                                      // 00000000D0D4: 7E0C0345
	s_mov_b64 s[60:61], 0                                      // 00000000D0D8: BEBC0180
	v_readlane_b32 s82, v3, 6                                  // 00000000D0DC: D2890052 00010D03
	s_and_b32 s82, s82, 0xffffff                               // 00000000D0E4: 8652FF52 00FFFFFF
	s_cmp_lt_u32 s82, s66                                      // 00000000D0EC: BF0A4252
	s_cselect_b32 s20, s36, s60                                // 00000000D0F0: 85143C24
	v_readlane_b32 s82, v3, 7                                  // 00000000D0F4: D2890052 00010F03
	s_and_b32 s82, s82, 0xffffff                               // 00000000D0FC: 8652FF52 00FFFFFF
	s_cmp_lt_u32 s82, s66                                      // 00000000D104: BF0A4252
	s_cselect_b32 s21, s36, s60                                // 00000000D108: 85153C24
	s_mov_b64 exec, s[20:21]                                   // 00000000D10C: BEFE0114
	global_atomic_add_f32 v6, v93, s[8:9]                      // 00000000D110: DD348000 00085D06
	s_mov_b64 exec, s[36:37]                                   // 00000000D118: BEFE0124
	v_mov_b32_e32 v6, v70                                      // 00000000D11C: 7E0C0346
	s_mov_b64 s[60:61], 0                                      // 00000000D120: BEBC0180
	v_readlane_b32 s82, v3, 8                                  // 00000000D124: D2890052 00011103
	s_and_b32 s82, s82, 0xffffff                               // 00000000D12C: 8652FF52 00FFFFFF
	s_cmp_lt_u32 s82, s66                                      // 00000000D134: BF0A4252
	s_cselect_b32 s20, s36, s60                                // 00000000D138: 85143C24
	v_readlane_b32 s82, v3, 9                                  // 00000000D13C: D2890052 00011303
	s_and_b32 s82, s82, 0xffffff                               // 00000000D144: 8652FF52 00FFFFFF
	s_cmp_lt_u32 s82, s66                                      // 00000000D14C: BF0A4252
	s_cselect_b32 s21, s36, s60                                // 00000000D150: 85153C24
	s_mov_b64 exec, s[20:21]                                   // 00000000D154: BEFE0114
	global_atomic_add_f32 v6, v96, s[8:9]                      // 00000000D158: DD348000 00086006
	s_mov_b64 exec, s[36:37]                                   // 00000000D160: BEFE0124
	v_mov_b32_e32 v6, v71                                      // 00000000D164: 7E0C0347
	s_mov_b64 s[60:61], 0                                      // 00000000D168: BEBC0180
	v_readlane_b32 s82, v3, 10                                 // 00000000D16C: D2890052 00011503
	s_and_b32 s82, s82, 0xffffff                               // 00000000D174: 8652FF52 00FFFFFF
	s_cmp_lt_u32 s82, s66                                      // 00000000D17C: BF0A4252
	s_cselect_b32 s20, s36, s60                                // 00000000D180: 85143C24
	v_readlane_b32 s82, v3, 11                                 // 00000000D184: D2890052 00011703
	s_and_b32 s82, s82, 0xffffff                               // 00000000D18C: 8652FF52 00FFFFFF
	s_cmp_lt_u32 s82, s66                                      // 00000000D194: BF0A4252
	s_cselect_b32 s21, s36, s60                                // 00000000D198: 85153C24
	s_mov_b64 exec, s[20:21]                                   // 00000000D19C: BEFE0114
	global_atomic_add_f32 v6, v97, s[8:9]                      // 00000000D1A0: DD348000 00086106
	s_mov_b64 exec, s[36:37]                                   // 00000000D1A8: BEFE0124
	v_mov_b32_e32 v6, v72                                      // 00000000D1AC: 7E0C0348
	s_mov_b64 s[60:61], 0                                      // 00000000D1B0: BEBC0180
	v_readlane_b32 s82, v3, 12                                 // 00000000D1B4: D2890052 00011903
	s_and_b32 s82, s82, 0xffffff                               // 00000000D1BC: 8652FF52 00FFFFFF
	s_cmp_lt_u32 s82, s66                                      // 00000000D1C4: BF0A4252
	s_cselect_b32 s20, s36, s60                                // 00000000D1C8: 85143C24
	v_readlane_b32 s82, v3, 13                                 // 00000000D1CC: D2890052 00011B03
	s_and_b32 s82, s82, 0xffffff                               // 00000000D1D4: 8652FF52 00FFFFFF
	s_cmp_lt_u32 s82, s66                                      // 00000000D1DC: BF0A4252
	s_cselect_b32 s21, s36, s60                                // 00000000D1E0: 85153C24
	s_mov_b64 exec, s[20:21]                                   // 00000000D1E4: BEFE0114
	global_atomic_add_f32 v6, v100, s[8:9]                     // 00000000D1E8: DD348000 00086406
	s_mov_b64 exec, s[36:37]                                   // 00000000D1F0: BEFE0124
	v_mov_b32_e32 v6, v73                                      // 00000000D1F4: 7E0C0349
	s_mov_b64 s[60:61], 0                                      // 00000000D1F8: BEBC0180
	v_readlane_b32 s82, v3, 14                                 // 00000000D1FC: D2890052 00011D03
	s_and_b32 s82, s82, 0xffffff                               // 00000000D204: 8652FF52 00FFFFFF
	s_cmp_lt_u32 s82, s66                                      // 00000000D20C: BF0A4252
	s_cselect_b32 s20, s36, s60                                // 00000000D210: 85143C24
	v_readlane_b32 s82, v3, 15                                 // 00000000D214: D2890052 00011F03
	s_and_b32 s82, s82, 0xffffff                               // 00000000D21C: 8652FF52 00FFFFFF
	s_cmp_lt_u32 s82, s66                                      // 00000000D224: BF0A4252
	s_cselect_b32 s21, s36, s60                                // 00000000D228: 85153C24
	s_mov_b64 exec, s[20:21]                                   // 00000000D22C: BEFE0114
	global_atomic_add_f32 v6, v101, s[8:9]                     // 00000000D230: DD348000 00086506
	s_mov_b64 exec, s[36:37]                                   // 00000000D238: BEFE0124
	v_mov_b32_e32 v6, v74                                      // 00000000D23C: 7E0C034A
	s_mov_b64 s[60:61], 0                                      // 00000000D240: BEBC0180
	v_readlane_b32 s82, v3, 16                                 // 00000000D244: D2890052 00012103
	s_and_b32 s82, s82, 0xffffff                               // 00000000D24C: 8652FF52 00FFFFFF
	s_cmp_lt_u32 s82, s66                                      // 00000000D254: BF0A4252
	s_cselect_b32 s20, s36, s60                                // 00000000D258: 85143C24
	v_readlane_b32 s82, v3, 17                                 // 00000000D25C: D2890052 00012303
	s_and_b32 s82, s82, 0xffffff                               // 00000000D264: 8652FF52 00FFFFFF
	s_cmp_lt_u32 s82, s66                                      // 00000000D26C: BF0A4252
	s_cselect_b32 s21, s36, s60                                // 00000000D270: 85153C24
	s_mov_b64 exec, s[20:21]                                   // 00000000D274: BEFE0114
	global_atomic_add_f32 v6, v104, s[8:9]                     // 00000000D278: DD348000 00086806
	s_mov_b64 exec, s[36:37]                                   // 00000000D280: BEFE0124
	v_mov_b32_e32 v6, v75                                      // 00000000D284: 7E0C034B
	s_mov_b64 s[60:61], 0                                      // 00000000D288: BEBC0180
	v_readlane_b32 s82, v3, 18                                 // 00000000D28C: D2890052 00012503
	s_and_b32 s82, s82, 0xffffff                               // 00000000D294: 8652FF52 00FFFFFF
	s_cmp_lt_u32 s82, s66                                      // 00000000D29C: BF0A4252
	s_cselect_b32 s20, s36, s60                                // 00000000D2A0: 85143C24
	v_readlane_b32 s82, v3, 19                                 // 00000000D2A4: D2890052 00012703
	s_and_b32 s82, s82, 0xffffff                               // 00000000D2AC: 8652FF52 00FFFFFF
	s_cmp_lt_u32 s82, s66                                      // 00000000D2B4: BF0A4252
	s_cselect_b32 s21, s36, s60                                // 00000000D2B8: 85153C24
	s_mov_b64 exec, s[20:21]                                   // 00000000D2BC: BEFE0114
	global_atomic_add_f32 v6, v105, s[8:9]                     // 00000000D2C0: DD348000 00086906
	s_mov_b64 exec, s[36:37]                                   // 00000000D2C8: BEFE0124
	v_mov_b32_e32 v6, v76                                      // 00000000D2CC: 7E0C034C
	s_mov_b64 s[60:61], 0                                      // 00000000D2D0: BEBC0180
	v_readlane_b32 s82, v3, 20                                 // 00000000D2D4: D2890052 00012903
	s_and_b32 s82, s82, 0xffffff                               // 00000000D2DC: 8652FF52 00FFFFFF
	s_cmp_lt_u32 s82, s66                                      // 00000000D2E4: BF0A4252
	s_cselect_b32 s20, s36, s60                                // 00000000D2E8: 85143C24
	v_readlane_b32 s82, v3, 21                                 // 00000000D2EC: D2890052 00012B03
	s_and_b32 s82, s82, 0xffffff                               // 00000000D2F4: 8652FF52 00FFFFFF
	s_cmp_lt_u32 s82, s66                                      // 00000000D2FC: BF0A4252
	s_cselect_b32 s21, s36, s60                                // 00000000D300: 85153C24
	s_mov_b64 exec, s[20:21]                                   // 00000000D304: BEFE0114
	global_atomic_add_f32 v6, v108, s[8:9]                     // 00000000D308: DD348000 00086C06
	s_mov_b64 exec, s[36:37]                                   // 00000000D310: BEFE0124
	v_mov_b32_e32 v6, v77                                      // 00000000D314: 7E0C034D
	s_mov_b64 s[60:61], 0                                      // 00000000D318: BEBC0180
	v_readlane_b32 s82, v3, 22                                 // 00000000D31C: D2890052 00012D03
	s_and_b32 s82, s82, 0xffffff                               // 00000000D324: 8652FF52 00FFFFFF
	s_cmp_lt_u32 s82, s66                                      // 00000000D32C: BF0A4252
	s_cselect_b32 s20, s36, s60                                // 00000000D330: 85143C24
	v_readlane_b32 s82, v3, 23                                 // 00000000D334: D2890052 00012F03
	s_and_b32 s82, s82, 0xffffff                               // 00000000D33C: 8652FF52 00FFFFFF
	s_cmp_lt_u32 s82, s66                                      // 00000000D344: BF0A4252
	s_cselect_b32 s21, s36, s60                                // 00000000D348: 85153C24
	s_mov_b64 exec, s[20:21]                                   // 00000000D34C: BEFE0114
	global_atomic_add_f32 v6, v109, s[8:9]                     // 00000000D350: DD348000 00086D06
	s_mov_b64 exec, s[36:37]                                   // 00000000D358: BEFE0124
	v_mov_b32_e32 v6, v78                                      // 00000000D35C: 7E0C034E
	s_mov_b64 s[60:61], 0                                      // 00000000D360: BEBC0180
	v_readlane_b32 s82, v3, 24                                 // 00000000D364: D2890052 00013103
	s_and_b32 s82, s82, 0xffffff                               // 00000000D36C: 8652FF52 00FFFFFF
	s_cmp_lt_u32 s82, s66                                      // 00000000D374: BF0A4252
	s_cselect_b32 s20, s36, s60                                // 00000000D378: 85143C24
	v_readlane_b32 s82, v3, 25                                 // 00000000D37C: D2890052 00013303
	s_and_b32 s82, s82, 0xffffff                               // 00000000D384: 8652FF52 00FFFFFF
	s_cmp_lt_u32 s82, s66                                      // 00000000D38C: BF0A4252
	s_cselect_b32 s21, s36, s60                                // 00000000D390: 85153C24
	s_mov_b64 exec, s[20:21]                                   // 00000000D394: BEFE0114
	global_atomic_add_f32 v6, v112, s[8:9]                     // 00000000D398: DD348000 00087006
	s_mov_b64 exec, s[36:37]                                   // 00000000D3A0: BEFE0124
	v_mov_b32_e32 v6, v79                                      // 00000000D3A4: 7E0C034F
	s_mov_b64 s[60:61], 0                                      // 00000000D3A8: BEBC0180
	v_readlane_b32 s82, v3, 26                                 // 00000000D3AC: D2890052 00013503
	s_and_b32 s82, s82, 0xffffff                               // 00000000D3B4: 8652FF52 00FFFFFF
	s_cmp_lt_u32 s82, s66                                      // 00000000D3BC: BF0A4252
	s_cselect_b32 s20, s36, s60                                // 00000000D3C0: 85143C24
	v_readlane_b32 s82, v3, 27                                 // 00000000D3C4: D2890052 00013703
	s_and_b32 s82, s82, 0xffffff                               // 00000000D3CC: 8652FF52 00FFFFFF
	s_cmp_lt_u32 s82, s66                                      // 00000000D3D4: BF0A4252
	s_cselect_b32 s21, s36, s60                                // 00000000D3D8: 85153C24
	s_mov_b64 exec, s[20:21]                                   // 00000000D3DC: BEFE0114
	global_atomic_add_f32 v6, v113, s[8:9]                     // 00000000D3E0: DD348000 00087106
	s_mov_b64 exec, s[36:37]                                   // 00000000D3E8: BEFE0124
	v_mov_b32_e32 v6, v80                                      // 00000000D3EC: 7E0C0350
	s_mov_b64 s[60:61], 0                                      // 00000000D3F0: BEBC0180
	v_readlane_b32 s82, v3, 28                                 // 00000000D3F4: D2890052 00013903
	s_and_b32 s82, s82, 0xffffff                               // 00000000D3FC: 8652FF52 00FFFFFF
	s_cmp_lt_u32 s82, s66                                      // 00000000D404: BF0A4252
	s_cselect_b32 s20, s36, s60                                // 00000000D408: 85143C24
	v_readlane_b32 s82, v3, 29                                 // 00000000D40C: D2890052 00013B03
	s_and_b32 s82, s82, 0xffffff                               // 00000000D414: 8652FF52 00FFFFFF
	s_cmp_lt_u32 s82, s66                                      // 00000000D41C: BF0A4252
	s_cselect_b32 s21, s36, s60                                // 00000000D420: 85153C24
	s_mov_b64 exec, s[20:21]                                   // 00000000D424: BEFE0114
	global_atomic_add_f32 v6, v116, s[8:9]                     // 00000000D428: DD348000 00087406
	s_mov_b64 exec, s[36:37]                                   // 00000000D430: BEFE0124
	v_mov_b32_e32 v6, v81                                      // 00000000D434: 7E0C0351
	s_mov_b64 s[60:61], 0                                      // 00000000D438: BEBC0180
	v_readlane_b32 s82, v3, 30                                 // 00000000D43C: D2890052 00013D03
	s_and_b32 s82, s82, 0xffffff                               // 00000000D444: 8652FF52 00FFFFFF
	s_cmp_lt_u32 s82, s66                                      // 00000000D44C: BF0A4252
	s_cselect_b32 s20, s36, s60                                // 00000000D450: 85143C24
	v_readlane_b32 s82, v3, 31                                 // 00000000D454: D2890052 00013F03
	s_and_b32 s82, s82, 0xffffff                               // 00000000D45C: 8652FF52 00FFFFFF
	s_cmp_lt_u32 s82, s66                                      // 00000000D464: BF0A4252
	s_cselect_b32 s21, s36, s60                                // 00000000D468: 85153C24
	s_mov_b64 exec, s[20:21]                                   // 00000000D46C: BEFE0114
	global_atomic_add_f32 v6, v117, s[8:9]                     // 00000000D470: DD348000 00087506
	s_mov_b64 exec, s[36:37]                                   // 00000000D478: BEFE0124
	v_mov_b32_e32 v6, v82                                      // 00000000D47C: 7E0C0352
	s_mov_b64 s[60:61], 0                                      // 00000000D480: BEBC0180
	v_readlane_b32 s82, v3, 32                                 // 00000000D484: D2890052 00014103
	s_and_b32 s82, s82, 0xffffff                               // 00000000D48C: 8652FF52 00FFFFFF
	s_cmp_lt_u32 s82, s66                                      // 00000000D494: BF0A4252
	s_cselect_b32 s20, s36, s60                                // 00000000D498: 85143C24
	v_readlane_b32 s82, v3, 33                                 // 00000000D49C: D2890052 00014303
	s_and_b32 s82, s82, 0xffffff                               // 00000000D4A4: 8652FF52 00FFFFFF
	s_cmp_lt_u32 s82, s66                                      // 00000000D4AC: BF0A4252
	s_cselect_b32 s21, s36, s60                                // 00000000D4B0: 85153C24
	s_mov_b64 exec, s[20:21]                                   // 00000000D4B4: BEFE0114
	global_atomic_add_f32 v6, v120, s[8:9]                     // 00000000D4B8: DD348000 00087806
	s_mov_b64 exec, s[36:37]                                   // 00000000D4C0: BEFE0124
	v_mov_b32_e32 v6, v83                                      // 00000000D4C4: 7E0C0353
	s_mov_b64 s[60:61], 0                                      // 00000000D4C8: BEBC0180
	v_readlane_b32 s82, v3, 34                                 // 00000000D4CC: D2890052 00014503
	s_and_b32 s82, s82, 0xffffff                               // 00000000D4D4: 8652FF52 00FFFFFF
	s_cmp_lt_u32 s82, s66                                      // 00000000D4DC: BF0A4252
	s_cselect_b32 s20, s36, s60                                // 00000000D4E0: 85143C24
	v_readlane_b32 s82, v3, 35                                 // 00000000D4E4: D2890052 00014703
	s_and_b32 s82, s82, 0xffffff                               // 00000000D4EC: 8652FF52 00FFFFFF
	s_cmp_lt_u32 s82, s66                                      // 00000000D4F4: BF0A4252
	s_cselect_b32 s21, s36, s60                                // 00000000D4F8: 85153C24
	s_mov_b64 exec, s[20:21]                                   // 00000000D4FC: BEFE0114
	global_atomic_add_f32 v6, v121, s[8:9]                     // 00000000D500: DD348000 00087906
	s_mov_b64 exec, s[36:37]                                   // 00000000D508: BEFE0124
	ds_write_b64 v20, v[90:91]                                 // 00000000D50C: D89A0000 00005A14
	ds_write_b64 v20, v[94:95] offset:2176                     // 00000000D514: D89A0880 00005E14
	ds_write_b64 v20, v[98:99] offset:4352                     // 00000000D51C: D89A1100 00006214
	ds_write_b64 v20, v[102:103] offset:6528                   // 00000000D524: D89A1980 00006614
	ds_write_b64 v20, v[106:107] offset:8704                   // 00000000D52C: D89A2200 00006A14
	ds_write_b64 v20, v[110:111] offset:10880                  // 00000000D534: D89A2A80 00006E14
	ds_write_b64 v20, v[114:115] offset:13056                  // 00000000D53C: D89A3300 00007214
	ds_write_b64 v20, v[118:119] offset:15232                  // 00000000D544: D89A3B80 00007614
	ds_write_b64 v20, v[122:123] offset:17408                  // 00000000D54C: D89A4400 00007A14
	s_waitcnt lgkmcnt(0)                                       // 00000000D554: BF8CC07F
	s_barrier                                                  // 00000000D558: BF8A0000
	ds_read_b32 v90, v21                                       // 00000000D55C: D86C0000 5A000015
	ds_read_b32 v91, v21 offset:64                             // 00000000D564: D86C0040 5B000015
	ds_read_b32 v94, v21 offset:2176                           // 00000000D56C: D86C0880 5E000015
	ds_read_b32 v95, v21 offset:2240                           // 00000000D574: D86C08C0 5F000015
	ds_read_b32 v98, v21 offset:4352                           // 00000000D57C: D86C1100 62000015
	ds_read_b32 v99, v21 offset:4416                           // 00000000D584: D86C1140 63000015
	ds_read_b32 v102, v21 offset:6528                          // 00000000D58C: D86C1980 66000015
	ds_read_b32 v103, v21 offset:6592                          // 00000000D594: D86C19C0 67000015
	ds_read_b32 v106, v21 offset:8704                          // 00000000D59C: D86C2200 6A000015
	ds_read_b32 v107, v21 offset:8768                          // 00000000D5A4: D86C2240 6B000015
	ds_read_b32 v110, v21 offset:10880                         // 00000000D5AC: D86C2A80 6E000015
	ds_read_b32 v111, v21 offset:10944                         // 00000000D5B4: D86C2AC0 6F000015
	ds_read_b32 v114, v21 offset:13056                         // 00000000D5BC: D86C3300 72000015
	ds_read_b32 v115, v21 offset:13120                         // 00000000D5C4: D86C3340 73000015
	ds_read_b32 v118, v21 offset:15232                         // 00000000D5CC: D86C3B80 76000015
	ds_read_b32 v119, v21 offset:15296                         // 00000000D5D4: D86C3BC0 77000015
	ds_read_b32 v122, v21 offset:17408                         // 00000000D5DC: D86C4400 7A000015
	ds_read_b32 v123, v21 offset:17472                         // 00000000D5E4: D86C4440 7B000015
	s_waitcnt lgkmcnt(0)                                       // 00000000D5EC: BF8CC07F
	v_mov_b32_e32 v7, 0                                        // 00000000D5F0: 7E0E0280
	s_mov_b64 exec, s[36:37]                                   // 00000000D5F4: BEFE0124
	v_mov_b32_e32 v6, v66                                      // 00000000D5F8: 7E0C0342
	s_mov_b64 s[60:61], 0                                      // 00000000D5FC: BEBC0180
	v_readlane_b32 s82, v3, 0                                  // 00000000D600: D2890052 00010103
	s_and_b32 s82, s82, 0xffffff                               // 00000000D608: 8652FF52 00FFFFFF
	s_cmp_lt_u32 s82, s66                                      // 00000000D610: BF0A4252
	s_cselect_b32 s20, s36, s60                                // 00000000D614: 85143C24
	v_readlane_b32 s82, v3, 1                                  // 00000000D618: D2890052 00010303
	s_and_b32 s82, s82, 0xffffff                               // 00000000D620: 8652FF52 00FFFFFF
	s_cmp_lt_u32 s82, s66                                      // 00000000D628: BF0A4252
	s_cselect_b32 s21, s36, s60                                // 00000000D62C: 85153C24
	s_mov_b64 exec, s[20:21]                                   // 00000000D630: BEFE0114
	global_atomic_add_f32 v6, v90, s[8:9] offset:8             // 00000000D634: DD348008 00085A06
	s_mov_b64 exec, s[36:37]                                   // 00000000D63C: BEFE0124
	v_mov_b32_e32 v6, v67                                      // 00000000D640: 7E0C0343
	s_mov_b64 s[60:61], 0                                      // 00000000D644: BEBC0180
	v_readlane_b32 s82, v3, 2                                  // 00000000D648: D2890052 00010503
	s_and_b32 s82, s82, 0xffffff                               // 00000000D650: 8652FF52 00FFFFFF
	s_cmp_lt_u32 s82, s66                                      // 00000000D658: BF0A4252
	s_cselect_b32 s20, s36, s60                                // 00000000D65C: 85143C24
	v_readlane_b32 s82, v3, 3                                  // 00000000D660: D2890052 00010703
	s_and_b32 s82, s82, 0xffffff                               // 00000000D668: 8652FF52 00FFFFFF
	s_cmp_lt_u32 s82, s66                                      // 00000000D670: BF0A4252
	s_cselect_b32 s21, s36, s60                                // 00000000D674: 85153C24
	s_mov_b64 exec, s[20:21]                                   // 00000000D678: BEFE0114
	global_atomic_add_f32 v6, v91, s[8:9] offset:8             // 00000000D67C: DD348008 00085B06
	s_mov_b64 exec, s[36:37]                                   // 00000000D684: BEFE0124
	v_mov_b32_e32 v6, v68                                      // 00000000D688: 7E0C0344
	s_mov_b64 s[60:61], 0                                      // 00000000D68C: BEBC0180
	v_readlane_b32 s82, v3, 4                                  // 00000000D690: D2890052 00010903
	s_and_b32 s82, s82, 0xffffff                               // 00000000D698: 8652FF52 00FFFFFF
	s_cmp_lt_u32 s82, s66                                      // 00000000D6A0: BF0A4252
	s_cselect_b32 s20, s36, s60                                // 00000000D6A4: 85143C24
	v_readlane_b32 s82, v3, 5                                  // 00000000D6A8: D2890052 00010B03
	s_and_b32 s82, s82, 0xffffff                               // 00000000D6B0: 8652FF52 00FFFFFF
	s_cmp_lt_u32 s82, s66                                      // 00000000D6B8: BF0A4252
	s_cselect_b32 s21, s36, s60                                // 00000000D6BC: 85153C24
	s_mov_b64 exec, s[20:21]                                   // 00000000D6C0: BEFE0114
	global_atomic_add_f32 v6, v94, s[8:9] offset:8             // 00000000D6C4: DD348008 00085E06
	s_mov_b64 exec, s[36:37]                                   // 00000000D6CC: BEFE0124
	v_mov_b32_e32 v6, v69                                      // 00000000D6D0: 7E0C0345
	s_mov_b64 s[60:61], 0                                      // 00000000D6D4: BEBC0180
	v_readlane_b32 s82, v3, 6                                  // 00000000D6D8: D2890052 00010D03
	s_and_b32 s82, s82, 0xffffff                               // 00000000D6E0: 8652FF52 00FFFFFF
	s_cmp_lt_u32 s82, s66                                      // 00000000D6E8: BF0A4252
	s_cselect_b32 s20, s36, s60                                // 00000000D6EC: 85143C24
	v_readlane_b32 s82, v3, 7                                  // 00000000D6F0: D2890052 00010F03
	s_and_b32 s82, s82, 0xffffff                               // 00000000D6F8: 8652FF52 00FFFFFF
	s_cmp_lt_u32 s82, s66                                      // 00000000D700: BF0A4252
	s_cselect_b32 s21, s36, s60                                // 00000000D704: 85153C24
	s_mov_b64 exec, s[20:21]                                   // 00000000D708: BEFE0114
	global_atomic_add_f32 v6, v95, s[8:9] offset:8             // 00000000D70C: DD348008 00085F06
	s_mov_b64 exec, s[36:37]                                   // 00000000D714: BEFE0124
	v_mov_b32_e32 v6, v70                                      // 00000000D718: 7E0C0346
	s_mov_b64 s[60:61], 0                                      // 00000000D71C: BEBC0180
	v_readlane_b32 s82, v3, 8                                  // 00000000D720: D2890052 00011103
	s_and_b32 s82, s82, 0xffffff                               // 00000000D728: 8652FF52 00FFFFFF
	s_cmp_lt_u32 s82, s66                                      // 00000000D730: BF0A4252
	s_cselect_b32 s20, s36, s60                                // 00000000D734: 85143C24
	v_readlane_b32 s82, v3, 9                                  // 00000000D738: D2890052 00011303
	s_and_b32 s82, s82, 0xffffff                               // 00000000D740: 8652FF52 00FFFFFF
	s_cmp_lt_u32 s82, s66                                      // 00000000D748: BF0A4252
	s_cselect_b32 s21, s36, s60                                // 00000000D74C: 85153C24
	s_mov_b64 exec, s[20:21]                                   // 00000000D750: BEFE0114
	global_atomic_add_f32 v6, v98, s[8:9] offset:8             // 00000000D754: DD348008 00086206
	s_mov_b64 exec, s[36:37]                                   // 00000000D75C: BEFE0124
	v_mov_b32_e32 v6, v71                                      // 00000000D760: 7E0C0347
	s_mov_b64 s[60:61], 0                                      // 00000000D764: BEBC0180
	v_readlane_b32 s82, v3, 10                                 // 00000000D768: D2890052 00011503
	s_and_b32 s82, s82, 0xffffff                               // 00000000D770: 8652FF52 00FFFFFF
	s_cmp_lt_u32 s82, s66                                      // 00000000D778: BF0A4252
	s_cselect_b32 s20, s36, s60                                // 00000000D77C: 85143C24
	v_readlane_b32 s82, v3, 11                                 // 00000000D780: D2890052 00011703
	s_and_b32 s82, s82, 0xffffff                               // 00000000D788: 8652FF52 00FFFFFF
	s_cmp_lt_u32 s82, s66                                      // 00000000D790: BF0A4252
	s_cselect_b32 s21, s36, s60                                // 00000000D794: 85153C24
	s_mov_b64 exec, s[20:21]                                   // 00000000D798: BEFE0114
	global_atomic_add_f32 v6, v99, s[8:9] offset:8             // 00000000D79C: DD348008 00086306
	s_mov_b64 exec, s[36:37]                                   // 00000000D7A4: BEFE0124
	v_mov_b32_e32 v6, v72                                      // 00000000D7A8: 7E0C0348
	s_mov_b64 s[60:61], 0                                      // 00000000D7AC: BEBC0180
	v_readlane_b32 s82, v3, 12                                 // 00000000D7B0: D2890052 00011903
	s_and_b32 s82, s82, 0xffffff                               // 00000000D7B8: 8652FF52 00FFFFFF
	s_cmp_lt_u32 s82, s66                                      // 00000000D7C0: BF0A4252
	s_cselect_b32 s20, s36, s60                                // 00000000D7C4: 85143C24
	v_readlane_b32 s82, v3, 13                                 // 00000000D7C8: D2890052 00011B03
	s_and_b32 s82, s82, 0xffffff                               // 00000000D7D0: 8652FF52 00FFFFFF
	s_cmp_lt_u32 s82, s66                                      // 00000000D7D8: BF0A4252
	s_cselect_b32 s21, s36, s60                                // 00000000D7DC: 85153C24
	s_mov_b64 exec, s[20:21]                                   // 00000000D7E0: BEFE0114
	global_atomic_add_f32 v6, v102, s[8:9] offset:8            // 00000000D7E4: DD348008 00086606
	s_mov_b64 exec, s[36:37]                                   // 00000000D7EC: BEFE0124
	v_mov_b32_e32 v6, v73                                      // 00000000D7F0: 7E0C0349
	s_mov_b64 s[60:61], 0                                      // 00000000D7F4: BEBC0180
	v_readlane_b32 s82, v3, 14                                 // 00000000D7F8: D2890052 00011D03
	s_and_b32 s82, s82, 0xffffff                               // 00000000D800: 8652FF52 00FFFFFF
	s_cmp_lt_u32 s82, s66                                      // 00000000D808: BF0A4252
	s_cselect_b32 s20, s36, s60                                // 00000000D80C: 85143C24
	v_readlane_b32 s82, v3, 15                                 // 00000000D810: D2890052 00011F03
	s_and_b32 s82, s82, 0xffffff                               // 00000000D818: 8652FF52 00FFFFFF
	s_cmp_lt_u32 s82, s66                                      // 00000000D820: BF0A4252
	s_cselect_b32 s21, s36, s60                                // 00000000D824: 85153C24
	s_mov_b64 exec, s[20:21]                                   // 00000000D828: BEFE0114
	global_atomic_add_f32 v6, v103, s[8:9] offset:8            // 00000000D82C: DD348008 00086706
	s_mov_b64 exec, s[36:37]                                   // 00000000D834: BEFE0124
	v_mov_b32_e32 v6, v74                                      // 00000000D838: 7E0C034A
	s_mov_b64 s[60:61], 0                                      // 00000000D83C: BEBC0180
	v_readlane_b32 s82, v3, 16                                 // 00000000D840: D2890052 00012103
	s_and_b32 s82, s82, 0xffffff                               // 00000000D848: 8652FF52 00FFFFFF
	s_cmp_lt_u32 s82, s66                                      // 00000000D850: BF0A4252
	s_cselect_b32 s20, s36, s60                                // 00000000D854: 85143C24
	v_readlane_b32 s82, v3, 17                                 // 00000000D858: D2890052 00012303
	s_and_b32 s82, s82, 0xffffff                               // 00000000D860: 8652FF52 00FFFFFF
	s_cmp_lt_u32 s82, s66                                      // 00000000D868: BF0A4252
	s_cselect_b32 s21, s36, s60                                // 00000000D86C: 85153C24
	s_mov_b64 exec, s[20:21]                                   // 00000000D870: BEFE0114
	global_atomic_add_f32 v6, v106, s[8:9] offset:8            // 00000000D874: DD348008 00086A06
	s_mov_b64 exec, s[36:37]                                   // 00000000D87C: BEFE0124
	v_mov_b32_e32 v6, v75                                      // 00000000D880: 7E0C034B
	s_mov_b64 s[60:61], 0                                      // 00000000D884: BEBC0180
	v_readlane_b32 s82, v3, 18                                 // 00000000D888: D2890052 00012503
	s_and_b32 s82, s82, 0xffffff                               // 00000000D890: 8652FF52 00FFFFFF
	s_cmp_lt_u32 s82, s66                                      // 00000000D898: BF0A4252
	s_cselect_b32 s20, s36, s60                                // 00000000D89C: 85143C24
	v_readlane_b32 s82, v3, 19                                 // 00000000D8A0: D2890052 00012703
	s_and_b32 s82, s82, 0xffffff                               // 00000000D8A8: 8652FF52 00FFFFFF
	s_cmp_lt_u32 s82, s66                                      // 00000000D8B0: BF0A4252
	s_cselect_b32 s21, s36, s60                                // 00000000D8B4: 85153C24
	s_mov_b64 exec, s[20:21]                                   // 00000000D8B8: BEFE0114
	global_atomic_add_f32 v6, v107, s[8:9] offset:8            // 00000000D8BC: DD348008 00086B06
	s_mov_b64 exec, s[36:37]                                   // 00000000D8C4: BEFE0124
	v_mov_b32_e32 v6, v76                                      // 00000000D8C8: 7E0C034C
	s_mov_b64 s[60:61], 0                                      // 00000000D8CC: BEBC0180
	v_readlane_b32 s82, v3, 20                                 // 00000000D8D0: D2890052 00012903
	s_and_b32 s82, s82, 0xffffff                               // 00000000D8D8: 8652FF52 00FFFFFF
	s_cmp_lt_u32 s82, s66                                      // 00000000D8E0: BF0A4252
	s_cselect_b32 s20, s36, s60                                // 00000000D8E4: 85143C24
	v_readlane_b32 s82, v3, 21                                 // 00000000D8E8: D2890052 00012B03
	s_and_b32 s82, s82, 0xffffff                               // 00000000D8F0: 8652FF52 00FFFFFF
	s_cmp_lt_u32 s82, s66                                      // 00000000D8F8: BF0A4252
	s_cselect_b32 s21, s36, s60                                // 00000000D8FC: 85153C24
	s_mov_b64 exec, s[20:21]                                   // 00000000D900: BEFE0114
	global_atomic_add_f32 v6, v110, s[8:9] offset:8            // 00000000D904: DD348008 00086E06
	s_mov_b64 exec, s[36:37]                                   // 00000000D90C: BEFE0124
	v_mov_b32_e32 v6, v77                                      // 00000000D910: 7E0C034D
	s_mov_b64 s[60:61], 0                                      // 00000000D914: BEBC0180
	v_readlane_b32 s82, v3, 22                                 // 00000000D918: D2890052 00012D03
	s_and_b32 s82, s82, 0xffffff                               // 00000000D920: 8652FF52 00FFFFFF
	s_cmp_lt_u32 s82, s66                                      // 00000000D928: BF0A4252
	s_cselect_b32 s20, s36, s60                                // 00000000D92C: 85143C24
	v_readlane_b32 s82, v3, 23                                 // 00000000D930: D2890052 00012F03
	s_and_b32 s82, s82, 0xffffff                               // 00000000D938: 8652FF52 00FFFFFF
	s_cmp_lt_u32 s82, s66                                      // 00000000D940: BF0A4252
	s_cselect_b32 s21, s36, s60                                // 00000000D944: 85153C24
	s_mov_b64 exec, s[20:21]                                   // 00000000D948: BEFE0114
	global_atomic_add_f32 v6, v111, s[8:9] offset:8            // 00000000D94C: DD348008 00086F06
	s_mov_b64 exec, s[36:37]                                   // 00000000D954: BEFE0124
	v_mov_b32_e32 v6, v78                                      // 00000000D958: 7E0C034E
	s_mov_b64 s[60:61], 0                                      // 00000000D95C: BEBC0180
	v_readlane_b32 s82, v3, 24                                 // 00000000D960: D2890052 00013103
	s_and_b32 s82, s82, 0xffffff                               // 00000000D968: 8652FF52 00FFFFFF
	s_cmp_lt_u32 s82, s66                                      // 00000000D970: BF0A4252
	s_cselect_b32 s20, s36, s60                                // 00000000D974: 85143C24
	v_readlane_b32 s82, v3, 25                                 // 00000000D978: D2890052 00013303
	s_and_b32 s82, s82, 0xffffff                               // 00000000D980: 8652FF52 00FFFFFF
	s_cmp_lt_u32 s82, s66                                      // 00000000D988: BF0A4252
	s_cselect_b32 s21, s36, s60                                // 00000000D98C: 85153C24
	s_mov_b64 exec, s[20:21]                                   // 00000000D990: BEFE0114
	global_atomic_add_f32 v6, v114, s[8:9] offset:8            // 00000000D994: DD348008 00087206
	s_mov_b64 exec, s[36:37]                                   // 00000000D99C: BEFE0124
	v_mov_b32_e32 v6, v79                                      // 00000000D9A0: 7E0C034F
	s_mov_b64 s[60:61], 0                                      // 00000000D9A4: BEBC0180
	v_readlane_b32 s82, v3, 26                                 // 00000000D9A8: D2890052 00013503
	s_and_b32 s82, s82, 0xffffff                               // 00000000D9B0: 8652FF52 00FFFFFF
	s_cmp_lt_u32 s82, s66                                      // 00000000D9B8: BF0A4252
	s_cselect_b32 s20, s36, s60                                // 00000000D9BC: 85143C24
	v_readlane_b32 s82, v3, 27                                 // 00000000D9C0: D2890052 00013703
	s_and_b32 s82, s82, 0xffffff                               // 00000000D9C8: 8652FF52 00FFFFFF
	s_cmp_lt_u32 s82, s66                                      // 00000000D9D0: BF0A4252
	s_cselect_b32 s21, s36, s60                                // 00000000D9D4: 85153C24
	s_mov_b64 exec, s[20:21]                                   // 00000000D9D8: BEFE0114
	global_atomic_add_f32 v6, v115, s[8:9] offset:8            // 00000000D9DC: DD348008 00087306
	s_mov_b64 exec, s[36:37]                                   // 00000000D9E4: BEFE0124
	v_mov_b32_e32 v6, v80                                      // 00000000D9E8: 7E0C0350
	s_mov_b64 s[60:61], 0                                      // 00000000D9EC: BEBC0180
	v_readlane_b32 s82, v3, 28                                 // 00000000D9F0: D2890052 00013903
	s_and_b32 s82, s82, 0xffffff                               // 00000000D9F8: 8652FF52 00FFFFFF
	s_cmp_lt_u32 s82, s66                                      // 00000000DA00: BF0A4252
	s_cselect_b32 s20, s36, s60                                // 00000000DA04: 85143C24
	v_readlane_b32 s82, v3, 29                                 // 00000000DA08: D2890052 00013B03
	s_and_b32 s82, s82, 0xffffff                               // 00000000DA10: 8652FF52 00FFFFFF
	s_cmp_lt_u32 s82, s66                                      // 00000000DA18: BF0A4252
	s_cselect_b32 s21, s36, s60                                // 00000000DA1C: 85153C24
	s_mov_b64 exec, s[20:21]                                   // 00000000DA20: BEFE0114
	global_atomic_add_f32 v6, v118, s[8:9] offset:8            // 00000000DA24: DD348008 00087606
	s_mov_b64 exec, s[36:37]                                   // 00000000DA2C: BEFE0124
	v_mov_b32_e32 v6, v81                                      // 00000000DA30: 7E0C0351
	s_mov_b64 s[60:61], 0                                      // 00000000DA34: BEBC0180
	v_readlane_b32 s82, v3, 30                                 // 00000000DA38: D2890052 00013D03
	s_and_b32 s82, s82, 0xffffff                               // 00000000DA40: 8652FF52 00FFFFFF
	s_cmp_lt_u32 s82, s66                                      // 00000000DA48: BF0A4252
	s_cselect_b32 s20, s36, s60                                // 00000000DA4C: 85143C24
	v_readlane_b32 s82, v3, 31                                 // 00000000DA50: D2890052 00013F03
	s_and_b32 s82, s82, 0xffffff                               // 00000000DA58: 8652FF52 00FFFFFF
	s_cmp_lt_u32 s82, s66                                      // 00000000DA60: BF0A4252
	s_cselect_b32 s21, s36, s60                                // 00000000DA64: 85153C24
	s_mov_b64 exec, s[20:21]                                   // 00000000DA68: BEFE0114
	global_atomic_add_f32 v6, v119, s[8:9] offset:8            // 00000000DA6C: DD348008 00087706
	s_mov_b64 exec, s[36:37]                                   // 00000000DA74: BEFE0124
	v_mov_b32_e32 v6, v82                                      // 00000000DA78: 7E0C0352
	s_mov_b64 s[60:61], 0                                      // 00000000DA7C: BEBC0180
	v_readlane_b32 s82, v3, 32                                 // 00000000DA80: D2890052 00014103
	s_and_b32 s82, s82, 0xffffff                               // 00000000DA88: 8652FF52 00FFFFFF
	s_cmp_lt_u32 s82, s66                                      // 00000000DA90: BF0A4252
	s_cselect_b32 s20, s36, s60                                // 00000000DA94: 85143C24
	v_readlane_b32 s82, v3, 33                                 // 00000000DA98: D2890052 00014303
	s_and_b32 s82, s82, 0xffffff                               // 00000000DAA0: 8652FF52 00FFFFFF
	s_cmp_lt_u32 s82, s66                                      // 00000000DAA8: BF0A4252
	s_cselect_b32 s21, s36, s60                                // 00000000DAAC: 85153C24
	s_mov_b64 exec, s[20:21]                                   // 00000000DAB0: BEFE0114
	global_atomic_add_f32 v6, v122, s[8:9] offset:8            // 00000000DAB4: DD348008 00087A06
	s_mov_b64 exec, s[36:37]                                   // 00000000DABC: BEFE0124
	v_mov_b32_e32 v6, v83                                      // 00000000DAC0: 7E0C0353
	s_mov_b64 s[60:61], 0                                      // 00000000DAC4: BEBC0180
	v_readlane_b32 s82, v3, 34                                 // 00000000DAC8: D2890052 00014503
	s_and_b32 s82, s82, 0xffffff                               // 00000000DAD0: 8652FF52 00FFFFFF
	s_cmp_lt_u32 s82, s66                                      // 00000000DAD8: BF0A4252
	s_cselect_b32 s20, s36, s60                                // 00000000DADC: 85143C24
	v_readlane_b32 s82, v3, 35                                 // 00000000DAE0: D2890052 00014703
	s_and_b32 s82, s82, 0xffffff                               // 00000000DAE8: 8652FF52 00FFFFFF
	s_cmp_lt_u32 s82, s66                                      // 00000000DAF0: BF0A4252
	s_cselect_b32 s21, s36, s60                                // 00000000DAF4: 85153C24
	s_mov_b64 exec, s[20:21]                                   // 00000000DAF8: BEFE0114
	global_atomic_add_f32 v6, v123, s[8:9] offset:8            // 00000000DAFC: DD348008 00087B06
	s_mov_b64 exec, s[36:37]                                   // 00000000DB04: BEFE0124
	ds_write_b64 v20, v[124:125]                               // 00000000DB08: D89A0000 00007C14
	ds_write_b64 v20, v[128:129] offset:2176                   // 00000000DB10: D89A0880 00008014
	ds_write_b64 v20, v[132:133] offset:4352                   // 00000000DB18: D89A1100 00008414
	ds_write_b64 v20, v[136:137] offset:6528                   // 00000000DB20: D89A1980 00008814
	ds_write_b64 v20, v[140:141] offset:8704                   // 00000000DB28: D89A2200 00008C14
	ds_write_b64 v20, v[144:145] offset:10880                  // 00000000DB30: D89A2A80 00009014
	ds_write_b64 v20, v[148:149] offset:13056                  // 00000000DB38: D89A3300 00009414
	ds_write_b64 v20, v[152:153] offset:15232                  // 00000000DB40: D89A3B80 00009814
	ds_write_b64 v20, v[156:157] offset:17408                  // 00000000DB48: D89A4400 00009C14
	s_waitcnt lgkmcnt(0)                                       // 00000000DB50: BF8CC07F
	s_barrier                                                  // 00000000DB54: BF8A0000
	ds_read_b32 v124, v21                                      // 00000000DB58: D86C0000 7C000015
	ds_read_b32 v125, v21 offset:64                            // 00000000DB60: D86C0040 7D000015
	ds_read_b32 v128, v21 offset:2176                          // 00000000DB68: D86C0880 80000015
	ds_read_b32 v129, v21 offset:2240                          // 00000000DB70: D86C08C0 81000015
	ds_read_b32 v132, v21 offset:4352                          // 00000000DB78: D86C1100 84000015
	ds_read_b32 v133, v21 offset:4416                          // 00000000DB80: D86C1140 85000015
	ds_read_b32 v136, v21 offset:6528                          // 00000000DB88: D86C1980 88000015
	ds_read_b32 v137, v21 offset:6592                          // 00000000DB90: D86C19C0 89000015
	ds_read_b32 v140, v21 offset:8704                          // 00000000DB98: D86C2200 8C000015
	ds_read_b32 v141, v21 offset:8768                          // 00000000DBA0: D86C2240 8D000015
	ds_read_b32 v144, v21 offset:10880                         // 00000000DBA8: D86C2A80 90000015
	ds_read_b32 v145, v21 offset:10944                         // 00000000DBB0: D86C2AC0 91000015
	ds_read_b32 v148, v21 offset:13056                         // 00000000DBB8: D86C3300 94000015
	ds_read_b32 v149, v21 offset:13120                         // 00000000DBC0: D86C3340 95000015
	ds_read_b32 v152, v21 offset:15232                         // 00000000DBC8: D86C3B80 98000015
	ds_read_b32 v153, v21 offset:15296                         // 00000000DBD0: D86C3BC0 99000015
	ds_read_b32 v156, v21 offset:17408                         // 00000000DBD8: D86C4400 9C000015
	ds_read_b32 v157, v21 offset:17472                         // 00000000DBE0: D86C4440 9D000015
	s_mul_i32 s60, s65, 4                                      // 00000000DBE8: 923C8441
	s_add_u32 s8, s60, s8                                      // 00000000DBEC: 8008083C
	s_addc_u32 s9, 0, s9                                       // 00000000DBF0: 82090980
	s_waitcnt lgkmcnt(0)                                       // 00000000DBF4: BF8CC07F
	v_mov_b32_e32 v7, 0                                        // 00000000DBF8: 7E0E0280
	s_mov_b64 exec, s[36:37]                                   // 00000000DBFC: BEFE0124
	v_mov_b32_e32 v6, v66                                      // 00000000DC00: 7E0C0342
	s_mov_b64 s[60:61], 0                                      // 00000000DC04: BEBC0180
	v_readlane_b32 s82, v3, 0                                  // 00000000DC08: D2890052 00010103
	s_and_b32 s82, s82, 0xffffff                               // 00000000DC10: 8652FF52 00FFFFFF
	s_cmp_lt_u32 s82, s66                                      // 00000000DC18: BF0A4252
	s_cselect_b32 s20, s36, s60                                // 00000000DC1C: 85143C24
	v_readlane_b32 s82, v3, 1                                  // 00000000DC20: D2890052 00010303
	s_and_b32 s82, s82, 0xffffff                               // 00000000DC28: 8652FF52 00FFFFFF
	s_cmp_lt_u32 s82, s66                                      // 00000000DC30: BF0A4252
	s_cselect_b32 s21, s36, s60                                // 00000000DC34: 85153C24
	s_mov_b64 exec, s[20:21]                                   // 00000000DC38: BEFE0114
	global_atomic_add_f32 v6, v124, s[8:9]                     // 00000000DC3C: DD348000 00087C06
	s_mov_b64 exec, s[36:37]                                   // 00000000DC44: BEFE0124
	v_mov_b32_e32 v6, v67                                      // 00000000DC48: 7E0C0343
	s_mov_b64 s[60:61], 0                                      // 00000000DC4C: BEBC0180
	v_readlane_b32 s82, v3, 2                                  // 00000000DC50: D2890052 00010503
	s_and_b32 s82, s82, 0xffffff                               // 00000000DC58: 8652FF52 00FFFFFF
	s_cmp_lt_u32 s82, s66                                      // 00000000DC60: BF0A4252
	s_cselect_b32 s20, s36, s60                                // 00000000DC64: 85143C24
	v_readlane_b32 s82, v3, 3                                  // 00000000DC68: D2890052 00010703
	s_and_b32 s82, s82, 0xffffff                               // 00000000DC70: 8652FF52 00FFFFFF
	s_cmp_lt_u32 s82, s66                                      // 00000000DC78: BF0A4252
	s_cselect_b32 s21, s36, s60                                // 00000000DC7C: 85153C24
	s_mov_b64 exec, s[20:21]                                   // 00000000DC80: BEFE0114
	global_atomic_add_f32 v6, v125, s[8:9]                     // 00000000DC84: DD348000 00087D06
	s_mov_b64 exec, s[36:37]                                   // 00000000DC8C: BEFE0124
	v_mov_b32_e32 v6, v68                                      // 00000000DC90: 7E0C0344
	s_mov_b64 s[60:61], 0                                      // 00000000DC94: BEBC0180
	v_readlane_b32 s82, v3, 4                                  // 00000000DC98: D2890052 00010903
	s_and_b32 s82, s82, 0xffffff                               // 00000000DCA0: 8652FF52 00FFFFFF
	s_cmp_lt_u32 s82, s66                                      // 00000000DCA8: BF0A4252
	s_cselect_b32 s20, s36, s60                                // 00000000DCAC: 85143C24
	v_readlane_b32 s82, v3, 5                                  // 00000000DCB0: D2890052 00010B03
	s_and_b32 s82, s82, 0xffffff                               // 00000000DCB8: 8652FF52 00FFFFFF
	s_cmp_lt_u32 s82, s66                                      // 00000000DCC0: BF0A4252
	s_cselect_b32 s21, s36, s60                                // 00000000DCC4: 85153C24
	s_mov_b64 exec, s[20:21]                                   // 00000000DCC8: BEFE0114
	global_atomic_add_f32 v6, v128, s[8:9]                     // 00000000DCCC: DD348000 00088006
	s_mov_b64 exec, s[36:37]                                   // 00000000DCD4: BEFE0124
	v_mov_b32_e32 v6, v69                                      // 00000000DCD8: 7E0C0345
	s_mov_b64 s[60:61], 0                                      // 00000000DCDC: BEBC0180
	v_readlane_b32 s82, v3, 6                                  // 00000000DCE0: D2890052 00010D03
	s_and_b32 s82, s82, 0xffffff                               // 00000000DCE8: 8652FF52 00FFFFFF
	s_cmp_lt_u32 s82, s66                                      // 00000000DCF0: BF0A4252
	s_cselect_b32 s20, s36, s60                                // 00000000DCF4: 85143C24
	v_readlane_b32 s82, v3, 7                                  // 00000000DCF8: D2890052 00010F03
	s_and_b32 s82, s82, 0xffffff                               // 00000000DD00: 8652FF52 00FFFFFF
	s_cmp_lt_u32 s82, s66                                      // 00000000DD08: BF0A4252
	s_cselect_b32 s21, s36, s60                                // 00000000DD0C: 85153C24
	s_mov_b64 exec, s[20:21]                                   // 00000000DD10: BEFE0114
	global_atomic_add_f32 v6, v129, s[8:9]                     // 00000000DD14: DD348000 00088106
	s_mov_b64 exec, s[36:37]                                   // 00000000DD1C: BEFE0124
	v_mov_b32_e32 v6, v70                                      // 00000000DD20: 7E0C0346
	s_mov_b64 s[60:61], 0                                      // 00000000DD24: BEBC0180
	v_readlane_b32 s82, v3, 8                                  // 00000000DD28: D2890052 00011103
	s_and_b32 s82, s82, 0xffffff                               // 00000000DD30: 8652FF52 00FFFFFF
	s_cmp_lt_u32 s82, s66                                      // 00000000DD38: BF0A4252
	s_cselect_b32 s20, s36, s60                                // 00000000DD3C: 85143C24
	v_readlane_b32 s82, v3, 9                                  // 00000000DD40: D2890052 00011303
	s_and_b32 s82, s82, 0xffffff                               // 00000000DD48: 8652FF52 00FFFFFF
	s_cmp_lt_u32 s82, s66                                      // 00000000DD50: BF0A4252
	s_cselect_b32 s21, s36, s60                                // 00000000DD54: 85153C24
	s_mov_b64 exec, s[20:21]                                   // 00000000DD58: BEFE0114
	global_atomic_add_f32 v6, v132, s[8:9]                     // 00000000DD5C: DD348000 00088406
	s_mov_b64 exec, s[36:37]                                   // 00000000DD64: BEFE0124
	v_mov_b32_e32 v6, v71                                      // 00000000DD68: 7E0C0347
	s_mov_b64 s[60:61], 0                                      // 00000000DD6C: BEBC0180
	v_readlane_b32 s82, v3, 10                                 // 00000000DD70: D2890052 00011503
	s_and_b32 s82, s82, 0xffffff                               // 00000000DD78: 8652FF52 00FFFFFF
	s_cmp_lt_u32 s82, s66                                      // 00000000DD80: BF0A4252
	s_cselect_b32 s20, s36, s60                                // 00000000DD84: 85143C24
	v_readlane_b32 s82, v3, 11                                 // 00000000DD88: D2890052 00011703
	s_and_b32 s82, s82, 0xffffff                               // 00000000DD90: 8652FF52 00FFFFFF
	s_cmp_lt_u32 s82, s66                                      // 00000000DD98: BF0A4252
	s_cselect_b32 s21, s36, s60                                // 00000000DD9C: 85153C24
	s_mov_b64 exec, s[20:21]                                   // 00000000DDA0: BEFE0114
	global_atomic_add_f32 v6, v133, s[8:9]                     // 00000000DDA4: DD348000 00088506
	s_mov_b64 exec, s[36:37]                                   // 00000000DDAC: BEFE0124
	v_mov_b32_e32 v6, v72                                      // 00000000DDB0: 7E0C0348
	s_mov_b64 s[60:61], 0                                      // 00000000DDB4: BEBC0180
	v_readlane_b32 s82, v3, 12                                 // 00000000DDB8: D2890052 00011903
	s_and_b32 s82, s82, 0xffffff                               // 00000000DDC0: 8652FF52 00FFFFFF
	s_cmp_lt_u32 s82, s66                                      // 00000000DDC8: BF0A4252
	s_cselect_b32 s20, s36, s60                                // 00000000DDCC: 85143C24
	v_readlane_b32 s82, v3, 13                                 // 00000000DDD0: D2890052 00011B03
	s_and_b32 s82, s82, 0xffffff                               // 00000000DDD8: 8652FF52 00FFFFFF
	s_cmp_lt_u32 s82, s66                                      // 00000000DDE0: BF0A4252
	s_cselect_b32 s21, s36, s60                                // 00000000DDE4: 85153C24
	s_mov_b64 exec, s[20:21]                                   // 00000000DDE8: BEFE0114
	global_atomic_add_f32 v6, v136, s[8:9]                     // 00000000DDEC: DD348000 00088806
	s_mov_b64 exec, s[36:37]                                   // 00000000DDF4: BEFE0124
	v_mov_b32_e32 v6, v73                                      // 00000000DDF8: 7E0C0349
	s_mov_b64 s[60:61], 0                                      // 00000000DDFC: BEBC0180
	v_readlane_b32 s82, v3, 14                                 // 00000000DE00: D2890052 00011D03
	s_and_b32 s82, s82, 0xffffff                               // 00000000DE08: 8652FF52 00FFFFFF
	s_cmp_lt_u32 s82, s66                                      // 00000000DE10: BF0A4252
	s_cselect_b32 s20, s36, s60                                // 00000000DE14: 85143C24
	v_readlane_b32 s82, v3, 15                                 // 00000000DE18: D2890052 00011F03
	s_and_b32 s82, s82, 0xffffff                               // 00000000DE20: 8652FF52 00FFFFFF
	s_cmp_lt_u32 s82, s66                                      // 00000000DE28: BF0A4252
	s_cselect_b32 s21, s36, s60                                // 00000000DE2C: 85153C24
	s_mov_b64 exec, s[20:21]                                   // 00000000DE30: BEFE0114
	global_atomic_add_f32 v6, v137, s[8:9]                     // 00000000DE34: DD348000 00088906
	s_mov_b64 exec, s[36:37]                                   // 00000000DE3C: BEFE0124
	v_mov_b32_e32 v6, v74                                      // 00000000DE40: 7E0C034A
	s_mov_b64 s[60:61], 0                                      // 00000000DE44: BEBC0180
	v_readlane_b32 s82, v3, 16                                 // 00000000DE48: D2890052 00012103
	s_and_b32 s82, s82, 0xffffff                               // 00000000DE50: 8652FF52 00FFFFFF
	s_cmp_lt_u32 s82, s66                                      // 00000000DE58: BF0A4252
	s_cselect_b32 s20, s36, s60                                // 00000000DE5C: 85143C24
	v_readlane_b32 s82, v3, 17                                 // 00000000DE60: D2890052 00012303
	s_and_b32 s82, s82, 0xffffff                               // 00000000DE68: 8652FF52 00FFFFFF
	s_cmp_lt_u32 s82, s66                                      // 00000000DE70: BF0A4252
	s_cselect_b32 s21, s36, s60                                // 00000000DE74: 85153C24
	s_mov_b64 exec, s[20:21]                                   // 00000000DE78: BEFE0114
	global_atomic_add_f32 v6, v140, s[8:9]                     // 00000000DE7C: DD348000 00088C06
	s_mov_b64 exec, s[36:37]                                   // 00000000DE84: BEFE0124
	v_mov_b32_e32 v6, v75                                      // 00000000DE88: 7E0C034B
	s_mov_b64 s[60:61], 0                                      // 00000000DE8C: BEBC0180
	v_readlane_b32 s82, v3, 18                                 // 00000000DE90: D2890052 00012503
	s_and_b32 s82, s82, 0xffffff                               // 00000000DE98: 8652FF52 00FFFFFF
	s_cmp_lt_u32 s82, s66                                      // 00000000DEA0: BF0A4252
	s_cselect_b32 s20, s36, s60                                // 00000000DEA4: 85143C24
	v_readlane_b32 s82, v3, 19                                 // 00000000DEA8: D2890052 00012703
	s_and_b32 s82, s82, 0xffffff                               // 00000000DEB0: 8652FF52 00FFFFFF
	s_cmp_lt_u32 s82, s66                                      // 00000000DEB8: BF0A4252
	s_cselect_b32 s21, s36, s60                                // 00000000DEBC: 85153C24
	s_mov_b64 exec, s[20:21]                                   // 00000000DEC0: BEFE0114
	global_atomic_add_f32 v6, v141, s[8:9]                     // 00000000DEC4: DD348000 00088D06
	s_mov_b64 exec, s[36:37]                                   // 00000000DECC: BEFE0124
	v_mov_b32_e32 v6, v76                                      // 00000000DED0: 7E0C034C
	s_mov_b64 s[60:61], 0                                      // 00000000DED4: BEBC0180
	v_readlane_b32 s82, v3, 20                                 // 00000000DED8: D2890052 00012903
	s_and_b32 s82, s82, 0xffffff                               // 00000000DEE0: 8652FF52 00FFFFFF
	s_cmp_lt_u32 s82, s66                                      // 00000000DEE8: BF0A4252
	s_cselect_b32 s20, s36, s60                                // 00000000DEEC: 85143C24
	v_readlane_b32 s82, v3, 21                                 // 00000000DEF0: D2890052 00012B03
	s_and_b32 s82, s82, 0xffffff                               // 00000000DEF8: 8652FF52 00FFFFFF
	s_cmp_lt_u32 s82, s66                                      // 00000000DF00: BF0A4252
	s_cselect_b32 s21, s36, s60                                // 00000000DF04: 85153C24
	s_mov_b64 exec, s[20:21]                                   // 00000000DF08: BEFE0114
	global_atomic_add_f32 v6, v144, s[8:9]                     // 00000000DF0C: DD348000 00089006
	s_mov_b64 exec, s[36:37]                                   // 00000000DF14: BEFE0124
	v_mov_b32_e32 v6, v77                                      // 00000000DF18: 7E0C034D
	s_mov_b64 s[60:61], 0                                      // 00000000DF1C: BEBC0180
	v_readlane_b32 s82, v3, 22                                 // 00000000DF20: D2890052 00012D03
	s_and_b32 s82, s82, 0xffffff                               // 00000000DF28: 8652FF52 00FFFFFF
	s_cmp_lt_u32 s82, s66                                      // 00000000DF30: BF0A4252
	s_cselect_b32 s20, s36, s60                                // 00000000DF34: 85143C24
	v_readlane_b32 s82, v3, 23                                 // 00000000DF38: D2890052 00012F03
	s_and_b32 s82, s82, 0xffffff                               // 00000000DF40: 8652FF52 00FFFFFF
	s_cmp_lt_u32 s82, s66                                      // 00000000DF48: BF0A4252
	s_cselect_b32 s21, s36, s60                                // 00000000DF4C: 85153C24
	s_mov_b64 exec, s[20:21]                                   // 00000000DF50: BEFE0114
	global_atomic_add_f32 v6, v145, s[8:9]                     // 00000000DF54: DD348000 00089106
	s_mov_b64 exec, s[36:37]                                   // 00000000DF5C: BEFE0124
	v_mov_b32_e32 v6, v78                                      // 00000000DF60: 7E0C034E
	s_mov_b64 s[60:61], 0                                      // 00000000DF64: BEBC0180
	v_readlane_b32 s82, v3, 24                                 // 00000000DF68: D2890052 00013103
	s_and_b32 s82, s82, 0xffffff                               // 00000000DF70: 8652FF52 00FFFFFF
	s_cmp_lt_u32 s82, s66                                      // 00000000DF78: BF0A4252
	s_cselect_b32 s20, s36, s60                                // 00000000DF7C: 85143C24
	v_readlane_b32 s82, v3, 25                                 // 00000000DF80: D2890052 00013303
	s_and_b32 s82, s82, 0xffffff                               // 00000000DF88: 8652FF52 00FFFFFF
	s_cmp_lt_u32 s82, s66                                      // 00000000DF90: BF0A4252
	s_cselect_b32 s21, s36, s60                                // 00000000DF94: 85153C24
	s_mov_b64 exec, s[20:21]                                   // 00000000DF98: BEFE0114
	global_atomic_add_f32 v6, v148, s[8:9]                     // 00000000DF9C: DD348000 00089406
	s_mov_b64 exec, s[36:37]                                   // 00000000DFA4: BEFE0124
	v_mov_b32_e32 v6, v79                                      // 00000000DFA8: 7E0C034F
	s_mov_b64 s[60:61], 0                                      // 00000000DFAC: BEBC0180
	v_readlane_b32 s82, v3, 26                                 // 00000000DFB0: D2890052 00013503
	s_and_b32 s82, s82, 0xffffff                               // 00000000DFB8: 8652FF52 00FFFFFF
	s_cmp_lt_u32 s82, s66                                      // 00000000DFC0: BF0A4252
	s_cselect_b32 s20, s36, s60                                // 00000000DFC4: 85143C24
	v_readlane_b32 s82, v3, 27                                 // 00000000DFC8: D2890052 00013703
	s_and_b32 s82, s82, 0xffffff                               // 00000000DFD0: 8652FF52 00FFFFFF
	s_cmp_lt_u32 s82, s66                                      // 00000000DFD8: BF0A4252
	s_cselect_b32 s21, s36, s60                                // 00000000DFDC: 85153C24
	s_mov_b64 exec, s[20:21]                                   // 00000000DFE0: BEFE0114
	global_atomic_add_f32 v6, v149, s[8:9]                     // 00000000DFE4: DD348000 00089506
	s_mov_b64 exec, s[36:37]                                   // 00000000DFEC: BEFE0124
	v_mov_b32_e32 v6, v80                                      // 00000000DFF0: 7E0C0350
	s_mov_b64 s[60:61], 0                                      // 00000000DFF4: BEBC0180
	v_readlane_b32 s82, v3, 28                                 // 00000000DFF8: D2890052 00013903
	s_and_b32 s82, s82, 0xffffff                               // 00000000E000: 8652FF52 00FFFFFF
	s_cmp_lt_u32 s82, s66                                      // 00000000E008: BF0A4252
	s_cselect_b32 s20, s36, s60                                // 00000000E00C: 85143C24
	v_readlane_b32 s82, v3, 29                                 // 00000000E010: D2890052 00013B03
	s_and_b32 s82, s82, 0xffffff                               // 00000000E018: 8652FF52 00FFFFFF
	s_cmp_lt_u32 s82, s66                                      // 00000000E020: BF0A4252
	s_cselect_b32 s21, s36, s60                                // 00000000E024: 85153C24
	s_mov_b64 exec, s[20:21]                                   // 00000000E028: BEFE0114
	global_atomic_add_f32 v6, v152, s[8:9]                     // 00000000E02C: DD348000 00089806
	s_mov_b64 exec, s[36:37]                                   // 00000000E034: BEFE0124
	v_mov_b32_e32 v6, v81                                      // 00000000E038: 7E0C0351
	s_mov_b64 s[60:61], 0                                      // 00000000E03C: BEBC0180
	v_readlane_b32 s82, v3, 30                                 // 00000000E040: D2890052 00013D03
	s_and_b32 s82, s82, 0xffffff                               // 00000000E048: 8652FF52 00FFFFFF
	s_cmp_lt_u32 s82, s66                                      // 00000000E050: BF0A4252
	s_cselect_b32 s20, s36, s60                                // 00000000E054: 85143C24
	v_readlane_b32 s82, v3, 31                                 // 00000000E058: D2890052 00013F03
	s_and_b32 s82, s82, 0xffffff                               // 00000000E060: 8652FF52 00FFFFFF
	s_cmp_lt_u32 s82, s66                                      // 00000000E068: BF0A4252
	s_cselect_b32 s21, s36, s60                                // 00000000E06C: 85153C24
	s_mov_b64 exec, s[20:21]                                   // 00000000E070: BEFE0114
	global_atomic_add_f32 v6, v153, s[8:9]                     // 00000000E074: DD348000 00089906
	s_mov_b64 exec, s[36:37]                                   // 00000000E07C: BEFE0124
	v_mov_b32_e32 v6, v82                                      // 00000000E080: 7E0C0352
	s_mov_b64 s[60:61], 0                                      // 00000000E084: BEBC0180
	v_readlane_b32 s82, v3, 32                                 // 00000000E088: D2890052 00014103
	s_and_b32 s82, s82, 0xffffff                               // 00000000E090: 8652FF52 00FFFFFF
	s_cmp_lt_u32 s82, s66                                      // 00000000E098: BF0A4252
	s_cselect_b32 s20, s36, s60                                // 00000000E09C: 85143C24
	v_readlane_b32 s82, v3, 33                                 // 00000000E0A0: D2890052 00014303
	s_and_b32 s82, s82, 0xffffff                               // 00000000E0A8: 8652FF52 00FFFFFF
	s_cmp_lt_u32 s82, s66                                      // 00000000E0B0: BF0A4252
	s_cselect_b32 s21, s36, s60                                // 00000000E0B4: 85153C24
	s_mov_b64 exec, s[20:21]                                   // 00000000E0B8: BEFE0114
	global_atomic_add_f32 v6, v156, s[8:9]                     // 00000000E0BC: DD348000 00089C06
	s_mov_b64 exec, s[36:37]                                   // 00000000E0C4: BEFE0124
	v_mov_b32_e32 v6, v83                                      // 00000000E0C8: 7E0C0353
	s_mov_b64 s[60:61], 0                                      // 00000000E0CC: BEBC0180
	v_readlane_b32 s82, v3, 34                                 // 00000000E0D0: D2890052 00014503
	s_and_b32 s82, s82, 0xffffff                               // 00000000E0D8: 8652FF52 00FFFFFF
	s_cmp_lt_u32 s82, s66                                      // 00000000E0E0: BF0A4252
	s_cselect_b32 s20, s36, s60                                // 00000000E0E4: 85143C24
	v_readlane_b32 s82, v3, 35                                 // 00000000E0E8: D2890052 00014703
	s_and_b32 s82, s82, 0xffffff                               // 00000000E0F0: 8652FF52 00FFFFFF
	s_cmp_lt_u32 s82, s66                                      // 00000000E0F8: BF0A4252
	s_cselect_b32 s21, s36, s60                                // 00000000E0FC: 85153C24
	s_mov_b64 exec, s[20:21]                                   // 00000000E100: BEFE0114
	global_atomic_add_f32 v6, v157, s[8:9]                     // 00000000E104: DD348000 00089D06
	s_mov_b64 exec, s[36:37]                                   // 00000000E10C: BEFE0124
	ds_write_b64 v20, v[126:127]                               // 00000000E110: D89A0000 00007E14
	ds_write_b64 v20, v[130:131] offset:2176                   // 00000000E118: D89A0880 00008214
	ds_write_b64 v20, v[134:135] offset:4352                   // 00000000E120: D89A1100 00008614
	ds_write_b64 v20, v[138:139] offset:6528                   // 00000000E128: D89A1980 00008A14
	ds_write_b64 v20, v[142:143] offset:8704                   // 00000000E130: D89A2200 00008E14
	ds_write_b64 v20, v[146:147] offset:10880                  // 00000000E138: D89A2A80 00009214
	ds_write_b64 v20, v[150:151] offset:13056                  // 00000000E140: D89A3300 00009614
	ds_write_b64 v20, v[154:155] offset:15232                  // 00000000E148: D89A3B80 00009A14
	ds_write_b64 v20, v[158:159] offset:17408                  // 00000000E150: D89A4400 00009E14
	s_waitcnt lgkmcnt(0)                                       // 00000000E158: BF8CC07F
	s_barrier                                                  // 00000000E15C: BF8A0000
	ds_read_b32 v126, v21                                      // 00000000E160: D86C0000 7E000015
	ds_read_b32 v127, v21 offset:64                            // 00000000E168: D86C0040 7F000015
	ds_read_b32 v130, v21 offset:2176                          // 00000000E170: D86C0880 82000015
	ds_read_b32 v131, v21 offset:2240                          // 00000000E178: D86C08C0 83000015
	ds_read_b32 v134, v21 offset:4352                          // 00000000E180: D86C1100 86000015
	ds_read_b32 v135, v21 offset:4416                          // 00000000E188: D86C1140 87000015
	ds_read_b32 v138, v21 offset:6528                          // 00000000E190: D86C1980 8A000015
	ds_read_b32 v139, v21 offset:6592                          // 00000000E198: D86C19C0 8B000015
	ds_read_b32 v142, v21 offset:8704                          // 00000000E1A0: D86C2200 8E000015
	ds_read_b32 v143, v21 offset:8768                          // 00000000E1A8: D86C2240 8F000015
	ds_read_b32 v146, v21 offset:10880                         // 00000000E1B0: D86C2A80 92000015
	ds_read_b32 v147, v21 offset:10944                         // 00000000E1B8: D86C2AC0 93000015
	ds_read_b32 v150, v21 offset:13056                         // 00000000E1C0: D86C3300 96000015
	ds_read_b32 v151, v21 offset:13120                         // 00000000E1C8: D86C3340 97000015
	ds_read_b32 v154, v21 offset:15232                         // 00000000E1D0: D86C3B80 9A000015
	ds_read_b32 v155, v21 offset:15296                         // 00000000E1D8: D86C3BC0 9B000015
	ds_read_b32 v158, v21 offset:17408                         // 00000000E1E0: D86C4400 9E000015
	ds_read_b32 v159, v21 offset:17472                         // 00000000E1E8: D86C4440 9F000015
	s_waitcnt lgkmcnt(0)                                       // 00000000E1F0: BF8CC07F
	v_mov_b32_e32 v7, 0                                        // 00000000E1F4: 7E0E0280
	s_mov_b64 exec, s[36:37]                                   // 00000000E1F8: BEFE0124
	v_mov_b32_e32 v6, v66                                      // 00000000E1FC: 7E0C0342
	s_mov_b64 s[60:61], 0                                      // 00000000E200: BEBC0180
	v_readlane_b32 s82, v3, 0                                  // 00000000E204: D2890052 00010103
	s_and_b32 s82, s82, 0xffffff                               // 00000000E20C: 8652FF52 00FFFFFF
	s_cmp_lt_u32 s82, s66                                      // 00000000E214: BF0A4252
	s_cselect_b32 s20, s36, s60                                // 00000000E218: 85143C24
	v_readlane_b32 s82, v3, 1                                  // 00000000E21C: D2890052 00010303
	s_and_b32 s82, s82, 0xffffff                               // 00000000E224: 8652FF52 00FFFFFF
	s_cmp_lt_u32 s82, s66                                      // 00000000E22C: BF0A4252
	s_cselect_b32 s21, s36, s60                                // 00000000E230: 85153C24
	s_mov_b64 exec, s[20:21]                                   // 00000000E234: BEFE0114
	global_atomic_add_f32 v6, v126, s[8:9] offset:8            // 00000000E238: DD348008 00087E06
	s_mov_b64 exec, s[36:37]                                   // 00000000E240: BEFE0124
	v_mov_b32_e32 v6, v67                                      // 00000000E244: 7E0C0343
	s_mov_b64 s[60:61], 0                                      // 00000000E248: BEBC0180
	v_readlane_b32 s82, v3, 2                                  // 00000000E24C: D2890052 00010503
	s_and_b32 s82, s82, 0xffffff                               // 00000000E254: 8652FF52 00FFFFFF
	s_cmp_lt_u32 s82, s66                                      // 00000000E25C: BF0A4252
	s_cselect_b32 s20, s36, s60                                // 00000000E260: 85143C24
	v_readlane_b32 s82, v3, 3                                  // 00000000E264: D2890052 00010703
	s_and_b32 s82, s82, 0xffffff                               // 00000000E26C: 8652FF52 00FFFFFF
	s_cmp_lt_u32 s82, s66                                      // 00000000E274: BF0A4252
	s_cselect_b32 s21, s36, s60                                // 00000000E278: 85153C24
	s_mov_b64 exec, s[20:21]                                   // 00000000E27C: BEFE0114
	global_atomic_add_f32 v6, v127, s[8:9] offset:8            // 00000000E280: DD348008 00087F06
	s_mov_b64 exec, s[36:37]                                   // 00000000E288: BEFE0124
	v_mov_b32_e32 v6, v68                                      // 00000000E28C: 7E0C0344
	s_mov_b64 s[60:61], 0                                      // 00000000E290: BEBC0180
	v_readlane_b32 s82, v3, 4                                  // 00000000E294: D2890052 00010903
	s_and_b32 s82, s82, 0xffffff                               // 00000000E29C: 8652FF52 00FFFFFF
	s_cmp_lt_u32 s82, s66                                      // 00000000E2A4: BF0A4252
	s_cselect_b32 s20, s36, s60                                // 00000000E2A8: 85143C24
	v_readlane_b32 s82, v3, 5                                  // 00000000E2AC: D2890052 00010B03
	s_and_b32 s82, s82, 0xffffff                               // 00000000E2B4: 8652FF52 00FFFFFF
	s_cmp_lt_u32 s82, s66                                      // 00000000E2BC: BF0A4252
	s_cselect_b32 s21, s36, s60                                // 00000000E2C0: 85153C24
	s_mov_b64 exec, s[20:21]                                   // 00000000E2C4: BEFE0114
	global_atomic_add_f32 v6, v130, s[8:9] offset:8            // 00000000E2C8: DD348008 00088206
	s_mov_b64 exec, s[36:37]                                   // 00000000E2D0: BEFE0124
	v_mov_b32_e32 v6, v69                                      // 00000000E2D4: 7E0C0345
	s_mov_b64 s[60:61], 0                                      // 00000000E2D8: BEBC0180
	v_readlane_b32 s82, v3, 6                                  // 00000000E2DC: D2890052 00010D03
	s_and_b32 s82, s82, 0xffffff                               // 00000000E2E4: 8652FF52 00FFFFFF
	s_cmp_lt_u32 s82, s66                                      // 00000000E2EC: BF0A4252
	s_cselect_b32 s20, s36, s60                                // 00000000E2F0: 85143C24
	v_readlane_b32 s82, v3, 7                                  // 00000000E2F4: D2890052 00010F03
	s_and_b32 s82, s82, 0xffffff                               // 00000000E2FC: 8652FF52 00FFFFFF
	s_cmp_lt_u32 s82, s66                                      // 00000000E304: BF0A4252
	s_cselect_b32 s21, s36, s60                                // 00000000E308: 85153C24
	s_mov_b64 exec, s[20:21]                                   // 00000000E30C: BEFE0114
	global_atomic_add_f32 v6, v131, s[8:9] offset:8            // 00000000E310: DD348008 00088306
	s_mov_b64 exec, s[36:37]                                   // 00000000E318: BEFE0124
	v_mov_b32_e32 v6, v70                                      // 00000000E31C: 7E0C0346
	s_mov_b64 s[60:61], 0                                      // 00000000E320: BEBC0180
	v_readlane_b32 s82, v3, 8                                  // 00000000E324: D2890052 00011103
	s_and_b32 s82, s82, 0xffffff                               // 00000000E32C: 8652FF52 00FFFFFF
	s_cmp_lt_u32 s82, s66                                      // 00000000E334: BF0A4252
	s_cselect_b32 s20, s36, s60                                // 00000000E338: 85143C24
	v_readlane_b32 s82, v3, 9                                  // 00000000E33C: D2890052 00011303
	s_and_b32 s82, s82, 0xffffff                               // 00000000E344: 8652FF52 00FFFFFF
	s_cmp_lt_u32 s82, s66                                      // 00000000E34C: BF0A4252
	s_cselect_b32 s21, s36, s60                                // 00000000E350: 85153C24
	s_mov_b64 exec, s[20:21]                                   // 00000000E354: BEFE0114
	global_atomic_add_f32 v6, v134, s[8:9] offset:8            // 00000000E358: DD348008 00088606
	s_mov_b64 exec, s[36:37]                                   // 00000000E360: BEFE0124
	v_mov_b32_e32 v6, v71                                      // 00000000E364: 7E0C0347
	s_mov_b64 s[60:61], 0                                      // 00000000E368: BEBC0180
	v_readlane_b32 s82, v3, 10                                 // 00000000E36C: D2890052 00011503
	s_and_b32 s82, s82, 0xffffff                               // 00000000E374: 8652FF52 00FFFFFF
	s_cmp_lt_u32 s82, s66                                      // 00000000E37C: BF0A4252
	s_cselect_b32 s20, s36, s60                                // 00000000E380: 85143C24
	v_readlane_b32 s82, v3, 11                                 // 00000000E384: D2890052 00011703
	s_and_b32 s82, s82, 0xffffff                               // 00000000E38C: 8652FF52 00FFFFFF
	s_cmp_lt_u32 s82, s66                                      // 00000000E394: BF0A4252
	s_cselect_b32 s21, s36, s60                                // 00000000E398: 85153C24
	s_mov_b64 exec, s[20:21]                                   // 00000000E39C: BEFE0114
	global_atomic_add_f32 v6, v135, s[8:9] offset:8            // 00000000E3A0: DD348008 00088706
	s_mov_b64 exec, s[36:37]                                   // 00000000E3A8: BEFE0124
	v_mov_b32_e32 v6, v72                                      // 00000000E3AC: 7E0C0348
	s_mov_b64 s[60:61], 0                                      // 00000000E3B0: BEBC0180
	v_readlane_b32 s82, v3, 12                                 // 00000000E3B4: D2890052 00011903
	s_and_b32 s82, s82, 0xffffff                               // 00000000E3BC: 8652FF52 00FFFFFF
	s_cmp_lt_u32 s82, s66                                      // 00000000E3C4: BF0A4252
	s_cselect_b32 s20, s36, s60                                // 00000000E3C8: 85143C24
	v_readlane_b32 s82, v3, 13                                 // 00000000E3CC: D2890052 00011B03
	s_and_b32 s82, s82, 0xffffff                               // 00000000E3D4: 8652FF52 00FFFFFF
	s_cmp_lt_u32 s82, s66                                      // 00000000E3DC: BF0A4252
	s_cselect_b32 s21, s36, s60                                // 00000000E3E0: 85153C24
	s_mov_b64 exec, s[20:21]                                   // 00000000E3E4: BEFE0114
	global_atomic_add_f32 v6, v138, s[8:9] offset:8            // 00000000E3E8: DD348008 00088A06
	s_mov_b64 exec, s[36:37]                                   // 00000000E3F0: BEFE0124
	v_mov_b32_e32 v6, v73                                      // 00000000E3F4: 7E0C0349
	s_mov_b64 s[60:61], 0                                      // 00000000E3F8: BEBC0180
	v_readlane_b32 s82, v3, 14                                 // 00000000E3FC: D2890052 00011D03
	s_and_b32 s82, s82, 0xffffff                               // 00000000E404: 8652FF52 00FFFFFF
	s_cmp_lt_u32 s82, s66                                      // 00000000E40C: BF0A4252
	s_cselect_b32 s20, s36, s60                                // 00000000E410: 85143C24
	v_readlane_b32 s82, v3, 15                                 // 00000000E414: D2890052 00011F03
	s_and_b32 s82, s82, 0xffffff                               // 00000000E41C: 8652FF52 00FFFFFF
	s_cmp_lt_u32 s82, s66                                      // 00000000E424: BF0A4252
	s_cselect_b32 s21, s36, s60                                // 00000000E428: 85153C24
	s_mov_b64 exec, s[20:21]                                   // 00000000E42C: BEFE0114
	global_atomic_add_f32 v6, v139, s[8:9] offset:8            // 00000000E430: DD348008 00088B06
	s_mov_b64 exec, s[36:37]                                   // 00000000E438: BEFE0124
	v_mov_b32_e32 v6, v74                                      // 00000000E43C: 7E0C034A
	s_mov_b64 s[60:61], 0                                      // 00000000E440: BEBC0180
	v_readlane_b32 s82, v3, 16                                 // 00000000E444: D2890052 00012103
	s_and_b32 s82, s82, 0xffffff                               // 00000000E44C: 8652FF52 00FFFFFF
	s_cmp_lt_u32 s82, s66                                      // 00000000E454: BF0A4252
	s_cselect_b32 s20, s36, s60                                // 00000000E458: 85143C24
	v_readlane_b32 s82, v3, 17                                 // 00000000E45C: D2890052 00012303
	s_and_b32 s82, s82, 0xffffff                               // 00000000E464: 8652FF52 00FFFFFF
	s_cmp_lt_u32 s82, s66                                      // 00000000E46C: BF0A4252
	s_cselect_b32 s21, s36, s60                                // 00000000E470: 85153C24
	s_mov_b64 exec, s[20:21]                                   // 00000000E474: BEFE0114
	global_atomic_add_f32 v6, v142, s[8:9] offset:8            // 00000000E478: DD348008 00088E06
	s_mov_b64 exec, s[36:37]                                   // 00000000E480: BEFE0124
	v_mov_b32_e32 v6, v75                                      // 00000000E484: 7E0C034B
	s_mov_b64 s[60:61], 0                                      // 00000000E488: BEBC0180
	v_readlane_b32 s82, v3, 18                                 // 00000000E48C: D2890052 00012503
	s_and_b32 s82, s82, 0xffffff                               // 00000000E494: 8652FF52 00FFFFFF
	s_cmp_lt_u32 s82, s66                                      // 00000000E49C: BF0A4252
	s_cselect_b32 s20, s36, s60                                // 00000000E4A0: 85143C24
	v_readlane_b32 s82, v3, 19                                 // 00000000E4A4: D2890052 00012703
	s_and_b32 s82, s82, 0xffffff                               // 00000000E4AC: 8652FF52 00FFFFFF
	s_cmp_lt_u32 s82, s66                                      // 00000000E4B4: BF0A4252
	s_cselect_b32 s21, s36, s60                                // 00000000E4B8: 85153C24
	s_mov_b64 exec, s[20:21]                                   // 00000000E4BC: BEFE0114
	global_atomic_add_f32 v6, v143, s[8:9] offset:8            // 00000000E4C0: DD348008 00088F06
	s_mov_b64 exec, s[36:37]                                   // 00000000E4C8: BEFE0124
	v_mov_b32_e32 v6, v76                                      // 00000000E4CC: 7E0C034C
	s_mov_b64 s[60:61], 0                                      // 00000000E4D0: BEBC0180
	v_readlane_b32 s82, v3, 20                                 // 00000000E4D4: D2890052 00012903
	s_and_b32 s82, s82, 0xffffff                               // 00000000E4DC: 8652FF52 00FFFFFF
	s_cmp_lt_u32 s82, s66                                      // 00000000E4E4: BF0A4252
	s_cselect_b32 s20, s36, s60                                // 00000000E4E8: 85143C24
	v_readlane_b32 s82, v3, 21                                 // 00000000E4EC: D2890052 00012B03
	s_and_b32 s82, s82, 0xffffff                               // 00000000E4F4: 8652FF52 00FFFFFF
	s_cmp_lt_u32 s82, s66                                      // 00000000E4FC: BF0A4252
	s_cselect_b32 s21, s36, s60                                // 00000000E500: 85153C24
	s_mov_b64 exec, s[20:21]                                   // 00000000E504: BEFE0114
	global_atomic_add_f32 v6, v146, s[8:9] offset:8            // 00000000E508: DD348008 00089206
	s_mov_b64 exec, s[36:37]                                   // 00000000E510: BEFE0124
	v_mov_b32_e32 v6, v77                                      // 00000000E514: 7E0C034D
	s_mov_b64 s[60:61], 0                                      // 00000000E518: BEBC0180
	v_readlane_b32 s82, v3, 22                                 // 00000000E51C: D2890052 00012D03
	s_and_b32 s82, s82, 0xffffff                               // 00000000E524: 8652FF52 00FFFFFF
	s_cmp_lt_u32 s82, s66                                      // 00000000E52C: BF0A4252
	s_cselect_b32 s20, s36, s60                                // 00000000E530: 85143C24
	v_readlane_b32 s82, v3, 23                                 // 00000000E534: D2890052 00012F03
	s_and_b32 s82, s82, 0xffffff                               // 00000000E53C: 8652FF52 00FFFFFF
	s_cmp_lt_u32 s82, s66                                      // 00000000E544: BF0A4252
	s_cselect_b32 s21, s36, s60                                // 00000000E548: 85153C24
	s_mov_b64 exec, s[20:21]                                   // 00000000E54C: BEFE0114
	global_atomic_add_f32 v6, v147, s[8:9] offset:8            // 00000000E550: DD348008 00089306
	s_mov_b64 exec, s[36:37]                                   // 00000000E558: BEFE0124
	v_mov_b32_e32 v6, v78                                      // 00000000E55C: 7E0C034E
	s_mov_b64 s[60:61], 0                                      // 00000000E560: BEBC0180
	v_readlane_b32 s82, v3, 24                                 // 00000000E564: D2890052 00013103
	s_and_b32 s82, s82, 0xffffff                               // 00000000E56C: 8652FF52 00FFFFFF
	s_cmp_lt_u32 s82, s66                                      // 00000000E574: BF0A4252
	s_cselect_b32 s20, s36, s60                                // 00000000E578: 85143C24
	v_readlane_b32 s82, v3, 25                                 // 00000000E57C: D2890052 00013303
	s_and_b32 s82, s82, 0xffffff                               // 00000000E584: 8652FF52 00FFFFFF
	s_cmp_lt_u32 s82, s66                                      // 00000000E58C: BF0A4252
	s_cselect_b32 s21, s36, s60                                // 00000000E590: 85153C24
	s_mov_b64 exec, s[20:21]                                   // 00000000E594: BEFE0114
	global_atomic_add_f32 v6, v150, s[8:9] offset:8            // 00000000E598: DD348008 00089606
	s_mov_b64 exec, s[36:37]                                   // 00000000E5A0: BEFE0124
	v_mov_b32_e32 v6, v79                                      // 00000000E5A4: 7E0C034F
	s_mov_b64 s[60:61], 0                                      // 00000000E5A8: BEBC0180
	v_readlane_b32 s82, v3, 26                                 // 00000000E5AC: D2890052 00013503
	s_and_b32 s82, s82, 0xffffff                               // 00000000E5B4: 8652FF52 00FFFFFF
	s_cmp_lt_u32 s82, s66                                      // 00000000E5BC: BF0A4252
	s_cselect_b32 s20, s36, s60                                // 00000000E5C0: 85143C24
	v_readlane_b32 s82, v3, 27                                 // 00000000E5C4: D2890052 00013703
	s_and_b32 s82, s82, 0xffffff                               // 00000000E5CC: 8652FF52 00FFFFFF
	s_cmp_lt_u32 s82, s66                                      // 00000000E5D4: BF0A4252
	s_cselect_b32 s21, s36, s60                                // 00000000E5D8: 85153C24
	s_mov_b64 exec, s[20:21]                                   // 00000000E5DC: BEFE0114
	global_atomic_add_f32 v6, v151, s[8:9] offset:8            // 00000000E5E0: DD348008 00089706
	s_mov_b64 exec, s[36:37]                                   // 00000000E5E8: BEFE0124
	v_mov_b32_e32 v6, v80                                      // 00000000E5EC: 7E0C0350
	s_mov_b64 s[60:61], 0                                      // 00000000E5F0: BEBC0180
	v_readlane_b32 s82, v3, 28                                 // 00000000E5F4: D2890052 00013903
	s_and_b32 s82, s82, 0xffffff                               // 00000000E5FC: 8652FF52 00FFFFFF
	s_cmp_lt_u32 s82, s66                                      // 00000000E604: BF0A4252
	s_cselect_b32 s20, s36, s60                                // 00000000E608: 85143C24
	v_readlane_b32 s82, v3, 29                                 // 00000000E60C: D2890052 00013B03
	s_and_b32 s82, s82, 0xffffff                               // 00000000E614: 8652FF52 00FFFFFF
	s_cmp_lt_u32 s82, s66                                      // 00000000E61C: BF0A4252
	s_cselect_b32 s21, s36, s60                                // 00000000E620: 85153C24
	s_mov_b64 exec, s[20:21]                                   // 00000000E624: BEFE0114
	global_atomic_add_f32 v6, v154, s[8:9] offset:8            // 00000000E628: DD348008 00089A06
	s_mov_b64 exec, s[36:37]                                   // 00000000E630: BEFE0124
	v_mov_b32_e32 v6, v81                                      // 00000000E634: 7E0C0351
	s_mov_b64 s[60:61], 0                                      // 00000000E638: BEBC0180
	v_readlane_b32 s82, v3, 30                                 // 00000000E63C: D2890052 00013D03
	s_and_b32 s82, s82, 0xffffff                               // 00000000E644: 8652FF52 00FFFFFF
	s_cmp_lt_u32 s82, s66                                      // 00000000E64C: BF0A4252
	s_cselect_b32 s20, s36, s60                                // 00000000E650: 85143C24
	v_readlane_b32 s82, v3, 31                                 // 00000000E654: D2890052 00013F03
	s_and_b32 s82, s82, 0xffffff                               // 00000000E65C: 8652FF52 00FFFFFF
	s_cmp_lt_u32 s82, s66                                      // 00000000E664: BF0A4252
	s_cselect_b32 s21, s36, s60                                // 00000000E668: 85153C24
	s_mov_b64 exec, s[20:21]                                   // 00000000E66C: BEFE0114
	global_atomic_add_f32 v6, v155, s[8:9] offset:8            // 00000000E670: DD348008 00089B06
	s_mov_b64 exec, s[36:37]                                   // 00000000E678: BEFE0124
	v_mov_b32_e32 v6, v82                                      // 00000000E67C: 7E0C0352
	s_mov_b64 s[60:61], 0                                      // 00000000E680: BEBC0180
	v_readlane_b32 s82, v3, 32                                 // 00000000E684: D2890052 00014103
	s_and_b32 s82, s82, 0xffffff                               // 00000000E68C: 8652FF52 00FFFFFF
	s_cmp_lt_u32 s82, s66                                      // 00000000E694: BF0A4252
	s_cselect_b32 s20, s36, s60                                // 00000000E698: 85143C24
	v_readlane_b32 s82, v3, 33                                 // 00000000E69C: D2890052 00014303
	s_and_b32 s82, s82, 0xffffff                               // 00000000E6A4: 8652FF52 00FFFFFF
	s_cmp_lt_u32 s82, s66                                      // 00000000E6AC: BF0A4252
	s_cselect_b32 s21, s36, s60                                // 00000000E6B0: 85153C24
	s_mov_b64 exec, s[20:21]                                   // 00000000E6B4: BEFE0114
	global_atomic_add_f32 v6, v158, s[8:9] offset:8            // 00000000E6B8: DD348008 00089E06
	s_mov_b64 exec, s[36:37]                                   // 00000000E6C0: BEFE0124
	v_mov_b32_e32 v6, v83                                      // 00000000E6C4: 7E0C0353
	s_mov_b64 s[60:61], 0                                      // 00000000E6C8: BEBC0180
	v_readlane_b32 s82, v3, 34                                 // 00000000E6CC: D2890052 00014503
	s_and_b32 s82, s82, 0xffffff                               // 00000000E6D4: 8652FF52 00FFFFFF
	s_cmp_lt_u32 s82, s66                                      // 00000000E6DC: BF0A4252
	s_cselect_b32 s20, s36, s60                                // 00000000E6E0: 85143C24
	v_readlane_b32 s82, v3, 35                                 // 00000000E6E4: D2890052 00014703
	s_and_b32 s82, s82, 0xffffff                               // 00000000E6EC: 8652FF52 00FFFFFF
	s_cmp_lt_u32 s82, s66                                      // 00000000E6F4: BF0A4252
	s_cselect_b32 s21, s36, s60                                // 00000000E6F8: 85153C24
	s_mov_b64 exec, s[20:21]                                   // 00000000E6FC: BEFE0114
	global_atomic_add_f32 v6, v159, s[8:9] offset:8            // 00000000E700: DD348008 00089F06
	s_mov_b64 exec, s[36:37]                                   // 00000000E708: BEFE0124
	s_branch label_2F47                                        // 00000000E70C: BF820000

000000000000e710 <label_2F47>:
	s_waitcnt vmcnt(0) expcnt(0) lgkmcnt(0)                    // 00000000E710: BF8C0000
	s_endpgm                                                   // 00000000E714: BF810000
